;; amdgpu-corpus repo=ROCm/rccl kind=compiled arch=gfx1250 opt=O3
	.amdgcn_target "amdgcn-amd-amdhsa--gfx1250"
	.amdhsa_code_object_version 6
	.text
	.p2align	2                               ; -- Begin function _ZN12_GLOBAL__N_17runRingI14__hip_fp8_e4m310FuncMinMaxIS1_E7ProtoLLLi0ELi1ELi0EEEviiP15ncclDevWorkColl
	.type	_ZN12_GLOBAL__N_17runRingI14__hip_fp8_e4m310FuncMinMaxIS1_E7ProtoLLLi0ELi1ELi0EEEviiP15ncclDevWorkColl,@function
_ZN12_GLOBAL__N_17runRingI14__hip_fp8_e4m310FuncMinMaxIS1_E7ProtoLLLi0ELi1ELi0EEEviiP15ncclDevWorkColl: ; @_ZN12_GLOBAL__N_17runRingI14__hip_fp8_e4m310FuncMinMaxIS1_E7ProtoLLLi0ELi1ELi0EEEviiP15ncclDevWorkColl
; %bb.0:
	s_wait_loadcnt_dscnt 0x0
	s_wait_kmcnt 0x0
	s_clause 0x15
	scratch_store_b32 off, v40, s32 offset:84
	; meta instruction
	scratch_store_b32 off, v41, s32 offset:80
	; meta instruction
	;; [unrolled: 2-line block ×21, first 2 shown]
	scratch_store_b32 off, v77, s32
	s_trap 2
	s_clause 0x2
	flat_load_b32 v12, v[2:3]
	flat_load_b128 v[4:7], v[2:3] offset:72
	flat_load_b64 v[68:69], v[2:3] offset:88
	v_mov_b32_e32 v20, v1
	ds_load_b32 v8, v0
	ds_load_b64 v[22:23], v0
	s_mov_b32 s0, exec_lo
                                        ; implicit-def: $vgpr54_vgpr55
                                        ; implicit-def: $vgpr24_vgpr25
	s_wait_dscnt 0x1
	v_readfirstlane_b32 s10, v8
	s_wait_loadcnt 0x2
	v_bfe_u32 v9, v12, 8, 8
	v_bitop3_b32 v1, v12, 0xff, v12 bitop3:0x3f
	s_delay_alu instid0(VALU_DEP_1) | instskip(NEXT) | instid1(VALU_DEP_1)
	v_add_nc_u32_e32 v10, v9, v1
	v_ashrrev_i32_e32 v11, 31, v10
	s_wait_loadcnt 0x1
	s_delay_alu instid0(VALU_DEP_1) | instskip(SKIP_2) | instid1(VALU_DEP_1)
	v_mul_u64_e32 v[18:19], v[6:7], v[10:11]
	v_and_b32_e32 v10, 0xff, v12
	s_wait_xcnt 0x0
	v_cmpx_ne_u32_e64 v8, v10
	s_xor_b32 s0, exec_lo, s0
	s_cbranch_execz .LBB0_6
; %bb.1:
	s_mov_b32 s1, exec_lo
                                        ; implicit-def: $vgpr54_vgpr55
                                        ; implicit-def: $vgpr24_vgpr25
	v_cmpx_ne_u32_e64 v8, v9
	s_xor_b32 s1, exec_lo, s1
	s_cbranch_execz .LBB0_3
; %bb.2:
	flat_load_b64 v[10:11], v[2:3] offset:96
	v_add_nc_u32_e32 v1, v8, v1
	s_delay_alu instid0(VALU_DEP_1) | instskip(NEXT) | instid1(VALU_DEP_1)
	v_mad_nc_u64_u32 v[24:25], v6, v1, v[4:5]
	v_mad_u32 v8, v7, v1, v25
	v_ashrrev_i32_e32 v1, 31, v1
	s_delay_alu instid0(VALU_DEP_1)
	v_mad_u32 v25, v6, v1, v8
	s_wait_loadcnt_dscnt 0x0
	v_lshrrev_b64 v[54:55], 17, v[10:11]
.LBB0_3:
	s_wait_xcnt 0x0
	s_and_not1_saveexec_b32 s1, s1
	s_cbranch_execz .LBB0_5
; %bb.4:
	flat_load_b32 v1, v[2:3] offset:100
	v_add_nc_u64_e32 v[24:25], v[18:19], v[4:5]
	s_wait_loadcnt 0x1
	v_mov_b64_e32 v[6:7], v[68:69]
	s_wait_loadcnt_dscnt 0x0
	v_lshrrev_b32_e32 v54, 6, v1
.LBB0_5:
	s_wait_xcnt 0x0
	s_or_b32 exec_lo, exec_lo, s1
.LBB0_6:
	s_and_not1_saveexec_b32 s0, s0
	s_cbranch_execz .LBB0_8
; %bb.7:
	flat_load_b64 v[6:7], v[2:3] offset:96
	v_mov_b64_e32 v[24:25], 0
	s_wait_loadcnt_dscnt 0x0
	v_lshlrev_b64_e32 v[54:55], 4, v[6:7]
	v_mov_b64_e32 v[6:7], v[4:5]
.LBB0_8:
	s_wait_xcnt 0x0
	s_or_b32 exec_lo, exec_lo, s0
	s_load_b32 s0, s[8:9], 0x0
	s_clause 0x2
	flat_load_b64 v[86:87], v[2:3] offset:104
	flat_load_u16 v13, v[2:3] offset:8
	flat_load_b32 v12, v[2:3] offset:4
	s_bfe_u32 s1, ttmp6, 0x4000c
	s_and_b32 s2, ttmp6, 15
	s_add_co_i32 s1, s1, 1
	s_getreg_b32 s3, hwreg(HW_REG_IB_STS2, 6, 4)
	s_mul_i32 s1, ttmp9, s1
	v_mov_b32_e32 v14, 0
	s_add_co_i32 s2, s2, s1
	s_cmp_eq_u32 s3, 0
	s_mov_b32 s1, 0
	s_cselect_b32 s2, ttmp9, s2
	v_mov_b64_e32 v[26:27], 0
	s_wait_kmcnt 0x0
	s_cmp_lt_u32 s2, s0
	s_cselect_b32 s0, 12, 18
	s_delay_alu instid0(SALU_CYCLE_1)
	s_add_nc_u64 s[2:3], s[8:9], s[0:1]
	flat_load_b128 v[8:11], v[2:3] offset:16
	global_load_u16 v1, v14, s[2:3]
	s_trap 2
	s_wait_xcnt 0x1
	ds_load_b32 v2, v0
	s_wait_dscnt 0x0
	v_cmp_gt_i32_e32 vcc_lo, 0, v2
	s_wait_xcnt 0x0
	v_readfirstlane_b32 s2, v2
	s_and_b32 vcc_lo, exec_lo, vcc_lo
	s_wait_loadcnt 0x2
	v_lshrrev_b64 v[14:15], 31, v[12:13]
	v_and_b32_e32 v12, 31, v0
	s_delay_alu instid0(VALU_DEP_1) | instskip(NEXT) | instid1(VALU_DEP_3)
	v_cmp_eq_u32_e64 s0, 0, v12
	v_and_b32_e32 v3, 3, v14
	s_delay_alu instid0(VALU_DEP_1)
	v_and_b32_e32 v13, 0xffff, v3
	s_cbranch_vccnz .LBB0_10
; %bb.9:
	s_trap 2
	ds_load_b64 v[14:15], v0
	s_mov_b32 s1, 1
	s_wait_dscnt 0x0
	v_readfirstlane_b32 s4, v14
	v_readfirstlane_b32 s5, v15
	flat_load_b64 v[2:3], v2, s[4:5] scale_offset
	s_wait_loadcnt_dscnt 0x0
	v_mad_nc_u64_u32 v[2:3], 0xa8, v13, v[2:3]
	s_clause 0x1
	flat_load_b64 v[32:33], v[2:3] offset:504
	flat_load_b64 v[34:35], v[2:3] offset:608
	v_add_nc_u64_e32 v[28:29], 0x1f8, v[2:3]
	s_wait_xcnt 0x0
	s_delay_alu instid0(VALU_DEP_1)
	v_dual_cndmask_b32 v3, 0, v29, s0 :: v_dual_cndmask_b32 v2, 0, v28, s0
	s_branch .LBB0_11
.LBB0_10:
	v_mov_b64_e32 v[28:29], 0
	v_mov_b64_e32 v[2:3], 0
                                        ; implicit-def: $vgpr34_vgpr35
                                        ; implicit-def: $vgpr32_vgpr33
.LBB0_11:
	s_trap 2
	ds_load_b32 v14, v0
	s_wait_dscnt 0x0
	v_cmp_gt_i32_e32 vcc_lo, 0, v14
	s_cbranch_vccnz .LBB0_13
; %bb.12:
	s_trap 2
	ds_load_b64 v[16:17], v0
	v_cmp_eq_u32_e32 vcc_lo, 0, v12
	s_wait_dscnt 0x0
	v_readfirstlane_b32 s4, v16
	v_readfirstlane_b32 s5, v17
	flat_load_b64 v[14:15], v14, s[4:5] scale_offset
	s_wait_loadcnt_dscnt 0x0
	v_mad_nc_u64_u32 v[26:27], 0xa8, v13, v[14:15]
	s_clause 0x1
	flat_load_b64 v[36:37], v[26:27]
	flat_load_b64 v[16:17], v[26:27] offset:104
	v_dual_cndmask_b32 v53, 0, v27 :: v_dual_cndmask_b32 v52, 0, v26
	s_branch .LBB0_14
.LBB0_13:
	v_mov_b64_e32 v[52:53], 0
                                        ; implicit-def: $vgpr16_vgpr17
                                        ; implicit-def: $vgpr36_vgpr37
.LBB0_14:
	s_wait_xcnt 0x2
	v_subrev_nc_u32_e32 v14, 32, v20
	v_cmp_gt_u32_e32 vcc_lo, s1, v12
	v_mov_b64_e32 v[12:13], 0
	v_mov_b64_e32 v[48:49], 0
                                        ; implicit-def: $vgpr38_vgpr39
	s_delay_alu instid0(VALU_DEP_4)
	v_cmp_ge_i32_e64 s0, v0, v14
	s_and_b32 s12, s0, vcc_lo
	s_wait_xcnt 0x0
	s_and_saveexec_b32 s0, s12
	s_cbranch_execz .LBB0_16
; %bb.15:
	s_clause 0x1
	flat_load_b64 v[48:49], v[2:3] offset:56
	flat_load_b64 v[38:39], v[2:3] offset:104
.LBB0_16:
	s_wait_xcnt 0x0
	s_or_b32 exec_lo, exec_lo, s0
	v_mov_b64_e32 v[50:51], 0
	v_cmp_gt_u32_e64 s0, s1, v0
                                        ; implicit-def: $vgpr64_vgpr65
	s_and_saveexec_b32 s1, s0
	s_cbranch_execz .LBB0_18
; %bb.17:
	flat_load_b64 v[50:51], v[52:53] offset:56
	s_wait_loadcnt_dscnt 0x0
	flat_load_b64 v[64:65], v[50:51] scope:SCOPE_SYS
	s_wait_loadcnt 0x0
	flat_load_b128 v[12:15], v[52:53] offset:96
.LBB0_18:
	s_wait_xcnt 0x0
	s_or_b32 exec_lo, exec_lo, s1
	v_mov_b64_e32 v[52:53], 0
	s_wait_loadcnt 0x0
	v_and_b32_e32 v30, 0xffff, v1
	s_mov_b32 s13, exec_lo
	v_cmpx_ne_u64_e32 0, v[6:7]
	s_cbranch_execnz .LBB0_34
; %bb.19:
	s_or_b32 exec_lo, exec_lo, s13
	s_and_saveexec_b32 s1, s12
	s_cbranch_execnz .LBB0_1024
.LBB0_20:
	s_or_b32 exec_lo, exec_lo, s1
	s_and_saveexec_b32 s1, s0
	s_cbranch_execz .LBB0_22
.LBB0_21:
	s_wait_dscnt 0x0
	flat_store_b64 v[26:27], v[14:15] offset:104
.LBB0_22:
	s_wait_xcnt 0x0
	s_or_b32 exec_lo, exec_lo, s1
	s_delay_alu instid0(SALU_CYCLE_1)
	s_mov_b32 s0, exec_lo
	v_cmpx_ne_u32_e32 32, v20
	s_cbranch_execz .LBB0_1031
; %bb.23:
	s_mov_b32 s1, exec_lo
	v_cmpx_ne_u32_e64 v20, v30
	s_xor_b32 s1, exec_lo, s1
	s_cbranch_execz .LBB0_1029
; %bb.24:
	v_and_b32_e32 v0, 31, v31
	s_mov_b32 s2, exec_lo
	s_delay_alu instid0(VALU_DEP_1)
	v_cmpx_eq_u32_e32 0, v0
	s_cbranch_execz .LBB0_1028
; %bb.25:
	s_mov_b32 s4, exec_lo
	s_mov_b32 s3, exec_lo
	v_mbcnt_lo_u32_b32 v0, s4, 0
	global_wb scope:SCOPE_DEV
	s_wait_storecnt 0x0
	s_wait_loadcnt_dscnt 0x0
	global_inv scope:SCOPE_DEV
	v_cmpx_eq_u32_e32 0, v0
	s_cbranch_execz .LBB0_27
; %bb.26:
	s_bcnt1_i32_b32 s4, s4
	s_delay_alu instid0(SALU_CYCLE_1)
	v_dual_mov_b32 v1, 0 :: v_dual_mov_b32 v0, s4
	s_wait_loadcnt 0x0
	ds_add_u64 v0, v[0:1]
	s_trap 2
.LBB0_27:
	s_or_b32 exec_lo, exec_lo, s3
	s_trap 2
	ds_load_b64 v[2:3], v0
	s_wait_dscnt 0x0
	v_dual_mov_b32 v1, 0 :: v_dual_lshrrev_b32 v0, 5, v20
	s_mov_b32 s3, exec_lo
	s_delay_alu instid0(VALU_DEP_1) | instskip(NEXT) | instid1(VALU_DEP_1)
	v_add_nc_u64_e32 v[0:1], v[52:53], v[0:1]
	v_cmpx_lt_u64_e64 v[2:3], v[0:1]
	s_cbranch_execz .LBB0_1027
; %bb.28:
	s_mov_b32 s4, 0
	s_mov_b32 s7, 0
                                        ; implicit-def: $sgpr5
                                        ; implicit-def: $sgpr6
	s_branch .LBB0_30
.LBB0_29:                               ;   in Loop: Header=BB0_30 Depth=1
	s_or_b32 exec_lo, exec_lo, s9
	s_delay_alu instid0(SALU_CYCLE_1) | instskip(NEXT) | instid1(SALU_CYCLE_1)
	s_and_b32 s8, exec_lo, s10
	s_or_b32 s4, s8, s4
	s_and_not1_b32 s5, s5, exec_lo
	s_and_b32 s8, s6, exec_lo
	s_delay_alu instid0(SALU_CYCLE_1)
	s_or_b32 s5, s5, s8
	s_and_not1_b32 exec_lo, exec_lo, s4
	s_cbranch_execz .LBB0_1025
.LBB0_30:                               ; =>This Inner Loop Header: Depth=1
	s_add_co_i32 s7, s7, 1
	s_delay_alu instid0(SALU_CYCLE_1) | instskip(SKIP_1) | instid1(SALU_CYCLE_1)
	s_cmp_lg_u32 s7, 0x2710
	s_cselect_b32 s8, -1, 0
	s_and_b32 vcc_lo, exec_lo, s8
	s_cbranch_vccz .LBB0_32
; %bb.31:                               ;   in Loop: Header=BB0_30 Depth=1
	s_mov_b32 s10, -1
	s_or_b32 s6, s6, exec_lo
	s_and_saveexec_b32 s9, s8
	s_cbranch_execz .LBB0_29
	s_branch .LBB0_33
.LBB0_32:                               ;   in Loop: Header=BB0_30 Depth=1
	s_trap 2
	ds_load_b64 v[2:3], v0
	s_and_not1_b32 s8, s8, exec_lo
	s_mov_b32 s7, 0
	s_wait_loadcnt_dscnt 0x0
	flat_load_b32 v2, v[2:3] scope:SCOPE_SYS
	s_wait_loadcnt_dscnt 0x0
	global_inv scope:SCOPE_SYS
	v_cmp_eq_u32_e32 vcc_lo, 0, v2
	s_and_b32 s9, vcc_lo, exec_lo
	s_delay_alu instid0(SALU_CYCLE_1)
	s_or_b32 s8, s8, s9
	s_mov_b32 s10, -1
	s_or_b32 s6, s6, exec_lo
	s_and_saveexec_b32 s9, s8
	s_cbranch_execz .LBB0_29
.LBB0_33:                               ;   in Loop: Header=BB0_30 Depth=1
	s_sleep 1
	s_trap 2
	ds_load_b64 v[2:3], v0
	s_wait_dscnt 0x0
	s_and_not1_b32 s6, s6, exec_lo
	v_cmp_ge_u64_e32 vcc_lo, v[2:3], v[0:1]
	s_or_not1_b32 s10, vcc_lo, exec_lo
	s_branch .LBB0_29
.LBB0_34:
	v_dual_mov_b32 v55, 0 :: v_dual_bitop2_b32 v1, 31, v31 bitop3:0x40
	v_add_nc_u64_e32 v[2:3], v[68:69], v[4:5]
	s_ashr_i32 s1, s2, 31
	s_ashr_i32 s11, s10, 31
	s_delay_alu instid0(VALU_DEP_2)
	v_mov_b32_e32 v85, v55
	v_cmp_eq_u32_e64 s5, 0, v1
	v_and_b32_e32 v1, 1, v86
	s_lshr_b32 s1, s1, 29
	v_add_nc_u64_e32 v[68:69], v[2:3], v[18:19]
	v_add_nc_u64_e32 v[2:3], v[24:25], v[10:11]
	v_dual_mov_b32 v83, v55 :: v_dual_lshlrev_b32 v84, 3, v0
	v_cmp_eq_u32_e64 s6, 1, v1
	v_dual_mov_b32 v1, v55 :: v_dual_mov_b32 v21, v55
	s_add_co_i32 s2, s2, s1
	v_mov_b64_e32 v[80:81], 0
	s_ashr_i32 s4, s2, 3
	s_ashr_i32 s14, s2, 7
	s_lshl_b64 s[2:3], s[10:11], 2
	v_cmp_ne_u64_e64 s1, 0, v[50:51]
	v_add_nc_u64_e32 v[70:71], s[2:3], v[22:23]
	s_wait_dscnt 0x0
	v_cmp_ne_u64_e64 s2, 0, v[12:13]
	v_add_nc_u64_e32 v[96:97], v[10:11], v[84:85]
	v_cmp_ne_u64_e64 s7, 0, v[48:49]
	v_add_nc_u64_e32 v[8:9], v[8:9], v[84:85]
	v_add_nc_u64_e32 v[98:99], v[2:3], v[84:85]
	v_lshlrev_b64_e32 v[102:103], 4, v[20:21]
	v_mov_b64_e32 v[52:53], 0
	v_and_b32_e32 v66, 0x1fffff0, v54
	v_dual_mov_b32 v67, v55 :: v_dual_lshrrev_b32 v82, 5, v20
	s_and_b32 s11, s4, -16
	v_cmp_ne_u32_e64 s3, 32, v20
	v_cmp_ne_u32_e64 s4, v20, v30
	v_dual_mov_b32 v87, v55 :: v_dual_lshlrev_b32 v86, 3, v20
	v_lshlrev_b32_e32 v56, 6, v20
	v_lshl_add_u64 v[100:101], v[0:1], 4, v[36:37]
	v_dual_mov_b32 v1, 1 :: v_dual_mov_b32 v21, 0
	s_cmp_gt_i32 s10, 2
	s_mov_b32 s15, 0
	s_cselect_b32 s16, -1, 0
	s_branch .LBB0_36
.LBB0_35:                               ;   in Loop: Header=BB0_36 Depth=1
	s_wait_xcnt 0x0
	s_or_b32 exec_lo, exec_lo, s8
	v_add_nc_u64_e32 v[80:81], v[80:81], v[66:67]
	v_add_nc_u64_e32 v[34:35], 1, v[34:35]
	v_add_nc_u64_e32 v[98:99], v[98:99], v[66:67]
	s_delay_alu instid0(VALU_DEP_3) | instskip(SKIP_1) | instid1(SALU_CYCLE_1)
	v_cmp_ge_u64_e32 vcc_lo, v[80:81], v[6:7]
	s_or_b32 s15, vcc_lo, s15
	s_and_not1_b32 exec_lo, exec_lo, s15
	s_cbranch_execz .LBB0_1023
.LBB0_36:                               ; =>This Loop Header: Depth=1
                                        ;     Child Loop BB0_41 Depth 2
                                        ;     Child Loop BB0_60 Depth 2
	;; [unrolled: 1-line block ×5, first 2 shown]
                                        ;       Child Loop BB0_90 Depth 3
                                        ;       Child Loop BB0_109 Depth 3
	;; [unrolled: 1-line block ×3, first 2 shown]
                                        ;         Child Loop BB0_137 Depth 4
                                        ;       Child Loop BB0_553 Depth 3
                                        ;       Child Loop BB0_126 Depth 3
                                        ;     Child Loop BB0_569 Depth 2
                                        ;       Child Loop BB0_577 Depth 3
                                        ;     Child Loop BB0_1011 Depth 2
	s_wait_loadcnt_dscnt 0x0
	flat_load_b32 v19, v[70:71] offset:-4
	v_sub_nc_u64_e32 v[2:3], v[6:7], v[80:81]
	s_delay_alu instid0(VALU_DEP_1) | instskip(NEXT) | instid1(VALU_DEP_1)
	v_min_u64 v[2:3], v[66:67], v[2:3]
	v_lshl_add_u32 v3, v2, 1, 14
	s_delay_alu instid0(VALU_DEP_1)
	v_and_b32_e32 v58, 0x7fffff0, v3
	s_wait_xcnt 0x0
	s_and_saveexec_b32 s9, s1
	s_cbranch_execz .LBB0_52
; %bb.37:                               ;   in Loop: Header=BB0_36 Depth=1
	v_add_nc_u64_e32 v[4:5], 1, v[14:15]
	v_add_nc_u64_e32 v[112:113], 8, v[64:65]
	s_mov_b32 s17, exec_lo
	s_delay_alu instid0(VALU_DEP_1)
	v_cmpx_lt_u64_e64 v[112:113], v[4:5]
	s_cbranch_execz .LBB0_49
; %bb.38:                               ;   in Loop: Header=BB0_36 Depth=1
	s_mov_b32 s18, 0
	s_mov_b32 s22, 0
	v_cmp_eq_u32_e32 vcc_lo, 0, v21
                                        ; implicit-def: $sgpr19
                                        ; implicit-def: $sgpr20
                                        ; implicit-def: $sgpr21
	s_branch .LBB0_41
.LBB0_39:                               ;   in Loop: Header=BB0_41 Depth=2
	s_or_b32 exec_lo, exec_lo, s27
	s_delay_alu instid0(SALU_CYCLE_1)
	s_and_not1_b32 s8, s21, exec_lo
	s_and_b32 s21, s25, exec_lo
	s_and_not1_b32 s20, s20, exec_lo
	s_and_b32 s24, s24, exec_lo
	s_or_b32 s21, s8, s21
	s_or_b32 s20, s20, s24
.LBB0_40:                               ;   in Loop: Header=BB0_41 Depth=2
	s_or_b32 exec_lo, exec_lo, s23
	s_delay_alu instid0(SALU_CYCLE_1) | instskip(NEXT) | instid1(SALU_CYCLE_1)
	s_and_b32 s8, exec_lo, s20
	s_or_b32 s18, s8, s18
	s_and_not1_b32 s8, s19, exec_lo
	s_and_b32 s19, s21, exec_lo
	s_delay_alu instid0(SALU_CYCLE_1)
	s_or_b32 s19, s8, s19
	s_and_not1_b32 exec_lo, exec_lo, s18
	s_cbranch_execz .LBB0_46
.LBB0_41:                               ;   Parent Loop BB0_36 Depth=1
                                        ; =>  This Inner Loop Header: Depth=2
	s_sleep 1
	s_wait_loadcnt_dscnt 0x0
	flat_load_b64 v[64:65], v[50:51] scope:SCOPE_DEV
	v_mov_b32_e32 v21, 1
	s_or_b32 s21, s21, exec_lo
	s_or_b32 s20, s20, exec_lo
                                        ; implicit-def: $vgpr3
	s_wait_xcnt 0x0
	s_and_saveexec_b32 s23, vcc_lo
	s_cbranch_execz .LBB0_40
; %bb.42:                               ;   in Loop: Header=BB0_41 Depth=2
	s_add_co_i32 s22, s22, 1
	s_mov_b32 s24, -1
	s_cmp_lg_u32 s22, 0x2710
	s_mov_b32 s25, -1
	s_cselect_b32 s26, -1, 0
	s_cmp_eq_u32 s22, 0x2710
                                        ; implicit-def: $vgpr3
	s_cbranch_scc1 .LBB0_44
; %bb.43:                               ;   in Loop: Header=BB0_41 Depth=2
	v_mov_b32_e32 v21, 1
	s_and_saveexec_b32 s27, s26
	s_cbranch_execz .LBB0_39
	s_branch .LBB0_45
.LBB0_44:                               ;   in Loop: Header=BB0_41 Depth=2
	s_trap 2
	ds_load_b64 v[112:113], v0
	s_and_not1_b32 s22, s26, exec_lo
	s_mov_b32 s25, 0
	s_wait_storecnt 0x0
	s_wait_loadcnt_dscnt 0x0
	flat_load_b32 v3, v[112:113] scope:SCOPE_SYS
	s_wait_loadcnt_dscnt 0x0
	global_inv scope:SCOPE_SYS
	v_cmp_eq_u32_e64 s8, 0, v3
	s_and_b32 s8, s8, exec_lo
	s_delay_alu instid0(SALU_CYCLE_1)
	s_or_b32 s26, s22, s8
	s_mov_b32 s22, 0
	v_mov_b32_e32 v21, 1
	s_and_saveexec_b32 s27, s26
	s_cbranch_execz .LBB0_39
.LBB0_45:                               ;   in Loop: Header=BB0_41 Depth=2
	s_wait_loadcnt_dscnt 0x0
	v_add_nc_u64_e32 v[112:113], 8, v[64:65]
	v_mov_b32_e32 v21, 0
	s_or_b32 s25, s25, exec_lo
	s_delay_alu instid0(VALU_DEP_2)
	v_cmp_ge_u64_e64 s8, v[112:113], v[4:5]
	s_or_not1_b32 s24, s8, exec_lo
	s_branch .LBB0_39
.LBB0_46:                               ;   in Loop: Header=BB0_36 Depth=1
	s_or_b32 exec_lo, exec_lo, s18
	s_xor_b32 s8, s19, -1
	s_delay_alu instid0(SALU_CYCLE_1) | instskip(NEXT) | instid1(SALU_CYCLE_1)
	s_and_saveexec_b32 s18, s8
	s_xor_b32 s8, exec_lo, s18
	s_cbranch_execz .LBB0_48
; %bb.47:                               ;   in Loop: Header=BB0_36 Depth=1
	v_mov_b32_e32 v21, 1
	s_wait_storecnt 0x0
	s_wait_loadcnt_dscnt 0x0
	ds_store_b32 v0, v3
	s_trap 2
.LBB0_48:                               ;   in Loop: Header=BB0_36 Depth=1
	s_or_b32 exec_lo, exec_lo, s8
.LBB0_49:                               ;   in Loop: Header=BB0_36 Depth=1
	s_delay_alu instid0(SALU_CYCLE_1)
	s_or_b32 exec_lo, exec_lo, s17
	s_and_saveexec_b32 s8, s2
	s_cbranch_execz .LBB0_51
; %bb.50:                               ;   in Loop: Header=BB0_36 Depth=1
	v_and_b32_e32 v54, 0x7ffffff8, v14
	s_delay_alu instid0(VALU_DEP_1) | instskip(SKIP_1) | instid1(VALU_DEP_1)
	v_cmp_eq_u64_e32 vcc_lo, 0x7ffffff8, v[54:55]
	v_cndmask_b32_e64 v112, v58, s11, vcc_lo
	v_dual_ashrrev_i32 v113, 31, v112 :: v_dual_bitop2_b32 v3, 7, v14 bitop3:0x40
	s_delay_alu instid0(VALU_DEP_1)
	v_mad_nc_u64_u32 v[14:15], v3, 24, v[12:13]
	flat_store_b64 v[14:15], v[112:113] offset:8 scope:SCOPE_SYS
	s_wait_storecnt 0x0
.LBB0_51:                               ;   in Loop: Header=BB0_36 Depth=1
	s_wait_xcnt 0x0
	s_or_b32 exec_lo, exec_lo, s8
	v_mov_b64_e32 v[14:15], v[4:5]
.LBB0_52:                               ;   in Loop: Header=BB0_36 Depth=1
	s_or_b32 exec_lo, exec_lo, s9
	s_and_saveexec_b32 s8, s3
	s_cbranch_execz .LBB0_71
; %bb.53:                               ;   in Loop: Header=BB0_36 Depth=1
	s_and_saveexec_b32 s9, s4
	s_delay_alu instid0(SALU_CYCLE_1)
	s_xor_b32 s9, exec_lo, s9
	s_cbranch_execz .LBB0_68
; %bb.54:                               ;   in Loop: Header=BB0_36 Depth=1
	s_and_saveexec_b32 s17, s5
	s_cbranch_execz .LBB0_67
; %bb.55:                               ;   in Loop: Header=BB0_36 Depth=1
	s_mov_b32 s19, exec_lo
	s_mov_b32 s18, exec_lo
	v_mbcnt_lo_u32_b32 v3, s19, 0
	global_wb scope:SCOPE_DEV
	s_wait_storecnt 0x0
	s_wait_loadcnt_dscnt 0x0
	global_inv scope:SCOPE_DEV
	v_cmpx_eq_u32_e32 0, v3
	s_cbranch_execz .LBB0_57
; %bb.56:                               ;   in Loop: Header=BB0_36 Depth=1
	s_bcnt1_i32_b32 s19, s19
	s_delay_alu instid0(SALU_CYCLE_1)
	v_mov_b32_e32 v54, s19
	s_wait_loadcnt 0x0
	ds_add_u64 v0, v[54:55]
	s_trap 2
.LBB0_57:                               ;   in Loop: Header=BB0_36 Depth=1
	s_or_b32 exec_lo, exec_lo, s18
	s_trap 2
	ds_load_b64 v[4:5], v0
	s_wait_dscnt 0x0
	v_add_nc_u64_e32 v[52:53], v[52:53], v[82:83]
	s_mov_b32 s18, exec_lo
	s_delay_alu instid0(VALU_DEP_1)
	v_cmpx_lt_u64_e64 v[4:5], v[52:53]
	s_cbranch_execz .LBB0_66
; %bb.58:                               ;   in Loop: Header=BB0_36 Depth=1
	s_mov_b32 s19, 0
	s_mov_b32 s22, 0
                                        ; implicit-def: $sgpr20
                                        ; implicit-def: $sgpr21
	s_branch .LBB0_60
.LBB0_59:                               ;   in Loop: Header=BB0_60 Depth=2
	s_or_b32 exec_lo, exec_lo, s24
	s_delay_alu instid0(SALU_CYCLE_1) | instskip(NEXT) | instid1(SALU_CYCLE_1)
	s_and_b32 s23, exec_lo, s25
	s_or_b32 s19, s23, s19
	s_and_not1_b32 s20, s20, exec_lo
	s_and_b32 s23, s21, exec_lo
	s_delay_alu instid0(SALU_CYCLE_1)
	s_or_b32 s20, s20, s23
	s_and_not1_b32 exec_lo, exec_lo, s19
	s_cbranch_execz .LBB0_64
.LBB0_60:                               ;   Parent Loop BB0_36 Depth=1
                                        ; =>  This Inner Loop Header: Depth=2
	s_add_co_i32 s22, s22, 1
	s_delay_alu instid0(SALU_CYCLE_1) | instskip(SKIP_1) | instid1(SALU_CYCLE_1)
	s_cmp_lg_u32 s22, 0x2710
	s_cselect_b32 s23, -1, 0
	s_and_b32 vcc_lo, exec_lo, s23
	s_cbranch_vccz .LBB0_62
; %bb.61:                               ;   in Loop: Header=BB0_60 Depth=2
	s_mov_b32 s25, -1
	s_or_b32 s21, s21, exec_lo
	s_and_saveexec_b32 s24, s23
	s_cbranch_execz .LBB0_59
	s_branch .LBB0_63
.LBB0_62:                               ;   in Loop: Header=BB0_60 Depth=2
	s_trap 2
	ds_load_b64 v[4:5], v0
	s_and_not1_b32 s23, s23, exec_lo
	s_mov_b32 s22, 0
	s_wait_loadcnt_dscnt 0x0
	flat_load_b32 v3, v[4:5] scope:SCOPE_SYS
	s_wait_loadcnt_dscnt 0x0
	global_inv scope:SCOPE_SYS
	v_cmp_eq_u32_e32 vcc_lo, 0, v3
	s_and_b32 s24, vcc_lo, exec_lo
	s_delay_alu instid0(SALU_CYCLE_1)
	s_or_b32 s23, s23, s24
	s_mov_b32 s25, -1
	s_or_b32 s21, s21, exec_lo
	s_and_saveexec_b32 s24, s23
	s_cbranch_execz .LBB0_59
.LBB0_63:                               ;   in Loop: Header=BB0_60 Depth=2
	s_sleep 1
	s_trap 2
	ds_load_b64 v[4:5], v0
	s_wait_dscnt 0x0
	s_and_not1_b32 s21, s21, exec_lo
	v_cmp_ge_u64_e32 vcc_lo, v[4:5], v[52:53]
	s_or_not1_b32 s25, vcc_lo, exec_lo
	s_branch .LBB0_59
.LBB0_64:                               ;   in Loop: Header=BB0_36 Depth=1
	s_or_b32 exec_lo, exec_lo, s19
	s_and_saveexec_b32 s19, s20
	s_delay_alu instid0(SALU_CYCLE_1)
	s_xor_b32 s19, exec_lo, s19
	s_cbranch_execz .LBB0_66
; %bb.65:                               ;   in Loop: Header=BB0_36 Depth=1
	ds_store_b32 v0, v1
	s_trap 2
.LBB0_66:                               ;   in Loop: Header=BB0_36 Depth=1
	s_or_b32 exec_lo, exec_lo, s18
	;;#ASMSTART
	s_wakeup
	;;#ASMEND
.LBB0_67:                               ;   in Loop: Header=BB0_36 Depth=1
	s_or_b32 exec_lo, exec_lo, s17
.LBB0_68:                               ;   in Loop: Header=BB0_36 Depth=1
	s_and_not1_saveexec_b32 s9, s9
	s_cbranch_execz .LBB0_70
; %bb.69:                               ;   in Loop: Header=BB0_36 Depth=1
	global_wb scope:SCOPE_DEV
	s_wait_storecnt 0x0
	s_wait_loadcnt_dscnt 0x0
	global_inv scope:SCOPE_DEV
	s_barrier_signal -1
	s_barrier_wait -1
.LBB0_70:                               ;   in Loop: Header=BB0_36 Depth=1
	s_or_b32 exec_lo, exec_lo, s9
.LBB0_71:                               ;   in Loop: Header=BB0_36 Depth=1
	s_delay_alu instid0(SALU_CYCLE_1) | instskip(SKIP_2) | instid1(VALU_DEP_2)
	s_or_b32 exec_lo, exec_lo, s8
	v_dual_mov_b32 v18, v0 :: v_dual_sub_nc_u32 v57, v2, v84
	v_dual_add_nc_u32 v3, 1, v16 :: v_dual_bitop2_b32 v116, 7, v16 bitop3:0x40
	v_cmp_lt_i32_e64 s8, 0, v57
	s_and_saveexec_b32 s9, s8
	s_cbranch_execz .LBB0_79
; %bb.72:                               ;   in Loop: Header=BB0_36 Depth=1
	s_wait_loadcnt_dscnt 0x0
	v_mad_nc_u64_u32 v[112:113], v68, v19, v[98:99]
	v_mul_lo_u32 v4, v116, s14
	v_mul_lo_u32 v18, v68, v19
	v_mov_b32_e32 v117, v57
	s_mov_b32 s17, 0
	s_delay_alu instid0(VALU_DEP_4) | instskip(NEXT) | instid1(VALU_DEP_4)
	v_mad_u32 v2, v69, v19, v113
	v_dual_ashrrev_i32 v19, 31, v19 :: v_dual_ashrrev_i32 v5, 31, v4
	s_delay_alu instid0(VALU_DEP_1) | instskip(NEXT) | instid1(VALU_DEP_2)
	v_lshl_add_u64 v[114:115], v[4:5], 4, v[100:101]
	v_mad_u32 v113, v68, v19, v2
	v_add_lshl_u32 v19, v98, v18, 3
	v_mov_b32_e32 v18, v0
	s_branch .LBB0_74
.LBB0_73:                               ;   in Loop: Header=BB0_74 Depth=2
	s_wait_xcnt 0x0
	s_or_b32 exec_lo, exec_lo, s18
	s_wait_loadcnt 0x0
	v_alignbit_b32 v2, v119, v2, v19
	v_alignbit_b32 v4, v118, v119, v19
	v_dual_mov_b32 v5, v3 :: v_dual_sub_nc_u32 v117, v117, v86
	v_add_nc_u64_e32 v[112:113], v[112:113], v[86:87]
	v_add_nc_u32_e32 v18, v18, v20
	v_add_nc_u32_e32 v19, v19, v56
	global_store_b128 v[114:115], v[2:5], off
	v_cmp_gt_i32_e32 vcc_lo, 1, v117
	s_wait_xcnt 0x0
	v_add_nc_u64_e32 v[114:115], v[114:115], v[102:103]
	s_or_b32 s17, vcc_lo, s17
	s_delay_alu instid0(SALU_CYCLE_1)
	s_and_not1_b32 exec_lo, exec_lo, s17
	s_cbranch_execz .LBB0_78
.LBB0_74:                               ;   Parent Loop BB0_36 Depth=1
                                        ; =>  This Inner Loop Header: Depth=2
	s_delay_alu instid0(VALU_DEP_3)
	v_dual_mov_b32 v5, v113 :: v_dual_bitop2_b32 v4, -4, v112 bitop3:0x40
	v_min_u32_e32 v54, 8, v117
	v_dual_mov_b32 v119, 0 :: v_dual_bitop2_b32 v118, 3, v112 bitop3:0x40
	s_mov_b32 s18, exec_lo
	global_load_b32 v2, v[4:5], off th:TH_LOAD_NT
	v_dual_add_nc_u32 v54, v118, v54 :: v_dual_mov_b32 v118, 0
	s_wait_xcnt 0x0
	s_delay_alu instid0(VALU_DEP_1)
	v_cmpx_lt_u32_e32 4, v54
	s_cbranch_execz .LBB0_76
; %bb.75:                               ;   in Loop: Header=BB0_74 Depth=2
	global_load_b32 v119, v[4:5], off offset:4 th:TH_LOAD_NT
.LBB0_76:                               ;   in Loop: Header=BB0_74 Depth=2
	s_wait_xcnt 0x0
	s_or_b32 exec_lo, exec_lo, s18
	s_delay_alu instid0(SALU_CYCLE_1)
	s_mov_b32 s18, exec_lo
	v_cmpx_lt_u64_e32 8, v[54:55]
	s_cbranch_execz .LBB0_73
; %bb.77:                               ;   in Loop: Header=BB0_74 Depth=2
	global_load_b32 v118, v[4:5], off offset:8 th:TH_LOAD_NT
	s_branch .LBB0_73
.LBB0_78:                               ;   in Loop: Header=BB0_36 Depth=1
	s_or_b32 exec_lo, exec_lo, s17
.LBB0_79:                               ;   in Loop: Header=BB0_36 Depth=1
	s_delay_alu instid0(SALU_CYCLE_1) | instskip(SKIP_2) | instid1(VALU_DEP_2)
	s_or_b32 exec_lo, exec_lo, s9
	v_and_b32_e32 v54, 0x7ffffff8, v16
	v_cmp_gt_i32_e64 s9, s14, v18
	v_cmp_eq_u64_e32 vcc_lo, 0x7ffffff8, v[54:55]
	s_and_b32 s17, vcc_lo, s9
	s_delay_alu instid0(SALU_CYCLE_1)
	s_and_saveexec_b32 s9, s17
	s_cbranch_execz .LBB0_82
; %bb.80:                               ;   in Loop: Header=BB0_36 Depth=1
	v_mul_lo_u32 v4, v116, s14
	v_mov_b32_e32 v2, v55
	s_mov_b32 s17, 0
	s_wait_loadcnt_dscnt 0x0
	s_delay_alu instid0(VALU_DEP_2) | instskip(NEXT) | instid1(VALU_DEP_1)
	v_dual_ashrrev_i32 v19, 31, v18 :: v_dual_ashrrev_i32 v5, 31, v4
	v_lshlrev_b64_e32 v[4:5], 4, v[4:5]
	s_delay_alu instid0(VALU_DEP_1) | instskip(NEXT) | instid1(VALU_DEP_1)
	v_lshl_add_u64 v[4:5], v[18:19], 4, v[4:5]
	v_add_nc_u64_e32 v[112:113], v[36:37], v[4:5]
.LBB0_81:                               ;   Parent Loop BB0_36 Depth=1
                                        ; =>  This Inner Loop Header: Depth=2
	v_dual_mov_b32 v4, v2 :: v_dual_mov_b32 v5, v3
	v_add_nc_u32_e32 v18, v18, v20
	global_store_b128 v[112:113], v[2:5], off
	v_cmp_le_i32_e32 vcc_lo, s14, v18
	s_wait_xcnt 0x0
	v_add_nc_u64_e32 v[112:113], v[112:113], v[102:103]
	s_or_b32 s17, vcc_lo, s17
	s_delay_alu instid0(SALU_CYCLE_1)
	s_and_not1_b32 exec_lo, exec_lo, s17
	s_cbranch_execnz .LBB0_81
.LBB0_82:                               ;   in Loop: Header=BB0_36 Depth=1
	s_or_b32 exec_lo, exec_lo, s9
	v_add_nc_u64_e32 v[112:113], v[80:81], v[24:25]
	v_add_nc_u64_e32 v[114:115], 1, v[16:17]
	s_and_not1_b32 vcc_lo, exec_lo, s16
	s_cbranch_vccnz .LBB0_564
; %bb.83:                               ;   in Loop: Header=BB0_36 Depth=1
	s_delay_alu instid0(VALU_DEP_2)
	v_add_nc_u64_e32 v[116:117], v[96:97], v[112:113]
	v_add_nc_u16 v59, v16, 1
	s_mov_b32 s17, 2
	s_branch .LBB0_85
.LBB0_84:                               ;   in Loop: Header=BB0_85 Depth=2
	s_or_b32 exec_lo, exec_lo, s9
	v_add_nc_u64_e32 v[34:35], 1, v[34:35]
	v_add_nc_u64_e32 v[114:115], 1, v[114:115]
	v_add_nc_u16 v59, v59, 1
	s_add_co_i32 s17, s17, 1
	s_delay_alu instid0(SALU_CYCLE_1)
	s_cmp_eq_u32 s17, s10
	s_cbranch_scc1 .LBB0_564
.LBB0_85:                               ;   Parent Loop BB0_36 Depth=1
                                        ; =>  This Loop Header: Depth=2
                                        ;       Child Loop BB0_90 Depth 3
                                        ;       Child Loop BB0_109 Depth 3
	;; [unrolled: 1-line block ×3, first 2 shown]
                                        ;         Child Loop BB0_137 Depth 4
                                        ;       Child Loop BB0_553 Depth 3
                                        ;       Child Loop BB0_126 Depth 3
	s_sub_co_i32 s9, s10, s17
	v_readfirstlane_b32 s18, v22
	v_mov_b32_e32 v2, s9
	v_readfirstlane_b32 s19, v23
	flat_load_b32 v4, v2, s[18:19] scale_offset
	s_wait_xcnt 0x0
	s_and_saveexec_b32 s18, s1
	s_cbranch_execz .LBB0_101
; %bb.86:                               ;   in Loop: Header=BB0_85 Depth=2
	v_add_nc_u64_e32 v[2:3], 1, v[14:15]
	s_wait_loadcnt_dscnt 0x101
	v_add_nc_u64_e32 v[16:17], 8, v[64:65]
	s_mov_b32 s19, exec_lo
	s_delay_alu instid0(VALU_DEP_1)
	v_cmpx_lt_u64_e64 v[16:17], v[2:3]
	s_cbranch_execz .LBB0_98
; %bb.87:                               ;   in Loop: Header=BB0_85 Depth=2
	s_mov_b32 s20, 0
	s_mov_b32 s24, 0
	v_cmp_eq_u32_e32 vcc_lo, 0, v21
                                        ; implicit-def: $sgpr21
                                        ; implicit-def: $sgpr22
                                        ; implicit-def: $sgpr23
	s_branch .LBB0_90
.LBB0_88:                               ;   in Loop: Header=BB0_90 Depth=3
	s_or_b32 exec_lo, exec_lo, s29
	s_delay_alu instid0(SALU_CYCLE_1)
	s_and_not1_b32 s9, s23, exec_lo
	s_and_b32 s23, s27, exec_lo
	s_and_not1_b32 s22, s22, exec_lo
	s_and_b32 s26, s26, exec_lo
	s_or_b32 s23, s9, s23
	s_or_b32 s22, s22, s26
.LBB0_89:                               ;   in Loop: Header=BB0_90 Depth=3
	s_or_b32 exec_lo, exec_lo, s25
	s_delay_alu instid0(SALU_CYCLE_1) | instskip(NEXT) | instid1(SALU_CYCLE_1)
	s_and_b32 s9, exec_lo, s22
	s_or_b32 s20, s9, s20
	s_and_not1_b32 s9, s21, exec_lo
	s_and_b32 s21, s23, exec_lo
	s_delay_alu instid0(SALU_CYCLE_1)
	s_or_b32 s21, s9, s21
	s_and_not1_b32 exec_lo, exec_lo, s20
	s_cbranch_execz .LBB0_95
.LBB0_90:                               ;   Parent Loop BB0_36 Depth=1
                                        ;     Parent Loop BB0_85 Depth=2
                                        ; =>    This Inner Loop Header: Depth=3
	s_sleep 1
	s_wait_loadcnt_dscnt 0x0
	flat_load_b64 v[64:65], v[50:51] scope:SCOPE_DEV
	v_mov_b32_e32 v21, 1
	s_or_b32 s23, s23, exec_lo
	s_or_b32 s22, s22, exec_lo
                                        ; implicit-def: $vgpr5
	s_wait_xcnt 0x0
	s_and_saveexec_b32 s25, vcc_lo
	s_cbranch_execz .LBB0_89
; %bb.91:                               ;   in Loop: Header=BB0_90 Depth=3
	s_add_co_i32 s24, s24, 1
	s_mov_b32 s26, -1
	s_cmp_lg_u32 s24, 0x2710
	s_mov_b32 s27, -1
	s_cselect_b32 s28, -1, 0
	s_cmp_eq_u32 s24, 0x2710
                                        ; implicit-def: $vgpr5
	s_cbranch_scc1 .LBB0_93
; %bb.92:                               ;   in Loop: Header=BB0_90 Depth=3
	v_mov_b32_e32 v21, 1
	s_and_saveexec_b32 s29, s28
	s_cbranch_execz .LBB0_88
	s_branch .LBB0_94
.LBB0_93:                               ;   in Loop: Header=BB0_90 Depth=3
	s_trap 2
	ds_load_b64 v[16:17], v0
	s_and_not1_b32 s24, s28, exec_lo
	s_mov_b32 s27, 0
	s_wait_storecnt 0x0
	s_wait_loadcnt_dscnt 0x0
	flat_load_b32 v5, v[16:17] scope:SCOPE_SYS
	s_wait_loadcnt_dscnt 0x0
	global_inv scope:SCOPE_SYS
	v_cmp_eq_u32_e64 s9, 0, v5
	s_and_b32 s9, s9, exec_lo
	s_delay_alu instid0(SALU_CYCLE_1)
	s_or_b32 s28, s24, s9
	s_mov_b32 s24, 0
	v_mov_b32_e32 v21, 1
	s_and_saveexec_b32 s29, s28
	s_cbranch_execz .LBB0_88
.LBB0_94:                               ;   in Loop: Header=BB0_90 Depth=3
	s_wait_loadcnt_dscnt 0x0
	v_add_nc_u64_e32 v[16:17], 8, v[64:65]
	v_mov_b32_e32 v21, 0
	s_or_b32 s27, s27, exec_lo
	s_delay_alu instid0(VALU_DEP_2)
	v_cmp_ge_u64_e64 s9, v[16:17], v[2:3]
	s_or_not1_b32 s26, s9, exec_lo
	s_branch .LBB0_88
.LBB0_95:                               ;   in Loop: Header=BB0_85 Depth=2
	s_or_b32 exec_lo, exec_lo, s20
	s_xor_b32 s9, s21, -1
	s_delay_alu instid0(SALU_CYCLE_1) | instskip(NEXT) | instid1(SALU_CYCLE_1)
	s_and_saveexec_b32 s20, s9
	s_xor_b32 s9, exec_lo, s20
	s_cbranch_execz .LBB0_97
; %bb.96:                               ;   in Loop: Header=BB0_85 Depth=2
	v_mov_b32_e32 v21, 1
	s_wait_storecnt 0x0
	s_wait_loadcnt_dscnt 0x0
	ds_store_b32 v0, v5
	s_trap 2
.LBB0_97:                               ;   in Loop: Header=BB0_85 Depth=2
	s_or_b32 exec_lo, exec_lo, s9
.LBB0_98:                               ;   in Loop: Header=BB0_85 Depth=2
	s_delay_alu instid0(SALU_CYCLE_1)
	s_or_b32 exec_lo, exec_lo, s19
	s_and_saveexec_b32 s9, s2
	s_cbranch_execz .LBB0_100
; %bb.99:                               ;   in Loop: Header=BB0_85 Depth=2
	v_and_b32_e32 v54, 0x7ffffff8, v14
	s_delay_alu instid0(VALU_DEP_1) | instskip(SKIP_1) | instid1(VALU_DEP_1)
	v_cmp_eq_u64_e32 vcc_lo, 0x7ffffff8, v[54:55]
	v_cndmask_b32_e64 v16, v58, s11, vcc_lo
	v_dual_ashrrev_i32 v17, 31, v16 :: v_dual_bitop2_b32 v5, 7, v14 bitop3:0x40
	s_delay_alu instid0(VALU_DEP_1)
	v_mad_nc_u64_u32 v[14:15], v5, 24, v[12:13]
	flat_store_b64 v[14:15], v[16:17] offset:8 scope:SCOPE_SYS
	s_wait_storecnt 0x0
.LBB0_100:                              ;   in Loop: Header=BB0_85 Depth=2
	s_wait_xcnt 0x0
	s_or_b32 exec_lo, exec_lo, s9
	v_mov_b64_e32 v[14:15], v[2:3]
.LBB0_101:                              ;   in Loop: Header=BB0_85 Depth=2
	s_or_b32 exec_lo, exec_lo, s18
	s_and_saveexec_b32 s9, s3
	s_cbranch_execz .LBB0_120
; %bb.102:                              ;   in Loop: Header=BB0_85 Depth=2
	s_and_saveexec_b32 s18, s4
	s_delay_alu instid0(SALU_CYCLE_1)
	s_xor_b32 s18, exec_lo, s18
	s_cbranch_execz .LBB0_117
; %bb.103:                              ;   in Loop: Header=BB0_85 Depth=2
	s_and_saveexec_b32 s19, s5
	s_cbranch_execz .LBB0_116
; %bb.104:                              ;   in Loop: Header=BB0_85 Depth=2
	s_mov_b32 s21, exec_lo
	s_mov_b32 s20, exec_lo
	v_mbcnt_lo_u32_b32 v2, s21, 0
	global_wb scope:SCOPE_DEV
	s_wait_storecnt 0x0
	s_wait_loadcnt_dscnt 0x0
	global_inv scope:SCOPE_DEV
	v_cmpx_eq_u32_e32 0, v2
	s_cbranch_execz .LBB0_106
; %bb.105:                              ;   in Loop: Header=BB0_85 Depth=2
	s_bcnt1_i32_b32 s21, s21
	s_delay_alu instid0(SALU_CYCLE_1)
	v_mov_b32_e32 v54, s21
	s_wait_loadcnt 0x0
	ds_add_u64 v0, v[54:55]
	s_trap 2
.LBB0_106:                              ;   in Loop: Header=BB0_85 Depth=2
	s_or_b32 exec_lo, exec_lo, s20
	s_trap 2
	ds_load_b64 v[2:3], v0
	s_wait_dscnt 0x0
	v_add_nc_u64_e32 v[52:53], v[52:53], v[82:83]
	s_mov_b32 s20, exec_lo
	s_delay_alu instid0(VALU_DEP_1)
	v_cmpx_lt_u64_e64 v[2:3], v[52:53]
	s_cbranch_execz .LBB0_115
; %bb.107:                              ;   in Loop: Header=BB0_85 Depth=2
	s_mov_b32 s21, 0
	s_mov_b32 s24, 0
                                        ; implicit-def: $sgpr22
                                        ; implicit-def: $sgpr23
	s_branch .LBB0_109
.LBB0_108:                              ;   in Loop: Header=BB0_109 Depth=3
	s_or_b32 exec_lo, exec_lo, s26
	s_delay_alu instid0(SALU_CYCLE_1) | instskip(NEXT) | instid1(SALU_CYCLE_1)
	s_and_b32 s25, exec_lo, s27
	s_or_b32 s21, s25, s21
	s_and_not1_b32 s22, s22, exec_lo
	s_and_b32 s25, s23, exec_lo
	s_delay_alu instid0(SALU_CYCLE_1)
	s_or_b32 s22, s22, s25
	s_and_not1_b32 exec_lo, exec_lo, s21
	s_cbranch_execz .LBB0_113
.LBB0_109:                              ;   Parent Loop BB0_36 Depth=1
                                        ;     Parent Loop BB0_85 Depth=2
                                        ; =>    This Inner Loop Header: Depth=3
	s_add_co_i32 s24, s24, 1
	s_delay_alu instid0(SALU_CYCLE_1) | instskip(SKIP_1) | instid1(SALU_CYCLE_1)
	s_cmp_lg_u32 s24, 0x2710
	s_cselect_b32 s25, -1, 0
	s_and_b32 vcc_lo, exec_lo, s25
	s_cbranch_vccz .LBB0_111
; %bb.110:                              ;   in Loop: Header=BB0_109 Depth=3
	s_mov_b32 s27, -1
	s_or_b32 s23, s23, exec_lo
	s_and_saveexec_b32 s26, s25
	s_cbranch_execz .LBB0_108
	s_branch .LBB0_112
.LBB0_111:                              ;   in Loop: Header=BB0_109 Depth=3
	s_trap 2
	ds_load_b64 v[2:3], v0
	s_and_not1_b32 s25, s25, exec_lo
	s_mov_b32 s24, 0
	s_wait_loadcnt_dscnt 0x0
	flat_load_b32 v2, v[2:3] scope:SCOPE_SYS
	s_wait_loadcnt_dscnt 0x0
	global_inv scope:SCOPE_SYS
	v_cmp_eq_u32_e32 vcc_lo, 0, v2
	s_and_b32 s26, vcc_lo, exec_lo
	s_delay_alu instid0(SALU_CYCLE_1)
	s_or_b32 s25, s25, s26
	s_mov_b32 s27, -1
	s_or_b32 s23, s23, exec_lo
	s_and_saveexec_b32 s26, s25
	s_cbranch_execz .LBB0_108
.LBB0_112:                              ;   in Loop: Header=BB0_109 Depth=3
	s_sleep 1
	s_trap 2
	ds_load_b64 v[2:3], v0
	s_wait_dscnt 0x0
	s_and_not1_b32 s23, s23, exec_lo
	v_cmp_ge_u64_e32 vcc_lo, v[2:3], v[52:53]
	s_or_not1_b32 s27, vcc_lo, exec_lo
	s_branch .LBB0_108
.LBB0_113:                              ;   in Loop: Header=BB0_85 Depth=2
	s_or_b32 exec_lo, exec_lo, s21
	s_and_saveexec_b32 s21, s22
	s_delay_alu instid0(SALU_CYCLE_1)
	s_xor_b32 s21, exec_lo, s21
	s_cbranch_execz .LBB0_115
; %bb.114:                              ;   in Loop: Header=BB0_85 Depth=2
	ds_store_b32 v0, v1
	s_trap 2
.LBB0_115:                              ;   in Loop: Header=BB0_85 Depth=2
	s_or_b32 exec_lo, exec_lo, s20
	;;#ASMSTART
	s_wakeup
	;;#ASMEND
.LBB0_116:                              ;   in Loop: Header=BB0_85 Depth=2
	s_or_b32 exec_lo, exec_lo, s19
.LBB0_117:                              ;   in Loop: Header=BB0_85 Depth=2
	s_and_not1_saveexec_b32 s18, s18
	s_cbranch_execz .LBB0_119
; %bb.118:                              ;   in Loop: Header=BB0_85 Depth=2
	global_wb scope:SCOPE_DEV
	s_wait_storecnt 0x0
	s_wait_loadcnt_dscnt 0x0
	global_inv scope:SCOPE_DEV
	s_barrier_signal -1
	s_barrier_wait -1
.LBB0_119:                              ;   in Loop: Header=BB0_85 Depth=2
	s_or_b32 exec_lo, exec_lo, s18
.LBB0_120:                              ;   in Loop: Header=BB0_85 Depth=2
	s_delay_alu instid0(SALU_CYCLE_1)
	s_or_b32 exec_lo, exec_lo, s9
	v_dual_mov_b32 v54, v0 :: v_dual_add_nc_u32 v3, 1, v114
	s_and_saveexec_b32 s18, s8
	s_cbranch_execnz .LBB0_127
; %bb.121:                              ;   in Loop: Header=BB0_85 Depth=2
	s_or_b32 exec_lo, exec_lo, s18
	s_and_saveexec_b32 s9, s3
	s_cbranch_execnz .LBB0_546
.LBB0_122:                              ;   in Loop: Header=BB0_85 Depth=2
	s_or_b32 exec_lo, exec_lo, s9
	s_and_saveexec_b32 s9, s7
	s_cbranch_execz .LBB0_124
.LBB0_123:                              ;   in Loop: Header=BB0_85 Depth=2
	v_add_nc_u64_e32 v[38:39], 1, v[38:39]
	global_wb scope:SCOPE_SYS
	s_wait_storecnt 0x0
	s_wait_loadcnt_dscnt 0x0
	flat_store_b64 v[48:49], v[38:39] scope:SCOPE_SYS
.LBB0_124:                              ;   in Loop: Header=BB0_85 Depth=2
	s_wait_xcnt 0x0
	s_or_b32 exec_lo, exec_lo, s9
	s_wait_loadcnt_dscnt 0x0
	v_and_b32_e32 v4, 0x7ffffff8, v114
	v_mov_b32_e32 v5, v55
	v_cmp_gt_i32_e64 s9, s14, v54
	s_delay_alu instid0(VALU_DEP_2) | instskip(SKIP_1) | instid1(SALU_CYCLE_1)
	v_cmp_eq_u64_e32 vcc_lo, 0x7ffffff8, v[4:5]
	s_and_b32 s18, vcc_lo, s9
	s_and_saveexec_b32 s9, s18
	s_cbranch_execz .LBB0_84
; %bb.125:                              ;   in Loop: Header=BB0_85 Depth=2
	v_dual_ashrrev_i32 v17, 31, v54 :: v_dual_bitop2_b32 v2, 7, v59 bitop3:0x40
	v_mov_b32_e32 v16, v54
	s_mov_b32 s18, 0
	s_delay_alu instid0(VALU_DEP_2) | instskip(NEXT) | instid1(VALU_DEP_1)
	v_mul_lo_u32 v4, s14, v2
	v_dual_mov_b32 v2, v55 :: v_dual_ashrrev_i32 v5, 31, v4
	s_delay_alu instid0(VALU_DEP_1) | instskip(NEXT) | instid1(VALU_DEP_1)
	v_lshlrev_b64_e32 v[4:5], 4, v[4:5]
	v_lshl_add_u64 v[4:5], v[16:17], 4, v[4:5]
	s_delay_alu instid0(VALU_DEP_1)
	v_add_nc_u64_e32 v[16:17], v[36:37], v[4:5]
.LBB0_126:                              ;   Parent Loop BB0_36 Depth=1
                                        ;     Parent Loop BB0_85 Depth=2
                                        ; =>    This Inner Loop Header: Depth=3
	s_delay_alu instid0(VALU_DEP_4)
	v_dual_mov_b32 v4, v2 :: v_dual_mov_b32 v5, v3
	v_add_nc_u32_e32 v54, v54, v20
	global_store_b128 v[16:17], v[2:5], off
	v_cmp_le_i32_e32 vcc_lo, s14, v54
	s_wait_xcnt 0x0
	v_add_nc_u64_e32 v[16:17], v[16:17], v[102:103]
	s_or_b32 s18, vcc_lo, s18
	s_delay_alu instid0(SALU_CYCLE_1)
	s_and_not1_b32 exec_lo, exec_lo, s18
	s_cbranch_execnz .LBB0_126
	s_branch .LBB0_84
.LBB0_127:                              ;   in Loop: Header=BB0_85 Depth=2
	v_and_b32_e32 v2, 7, v34
	s_wait_loadcnt_dscnt 0x0
	v_mad_nc_u64_u32 v[118:119], v68, v4, v[116:117]
	v_dual_add_nc_u32 v60, 1, v34 :: v_dual_mov_b32 v54, v0
	s_mov_b32 s19, 0
	v_mul_lo_u32 v16, v2, s14
	v_dual_mov_b32 v61, v57 :: v_dual_bitop2_b32 v5, 7, v114 bitop3:0x40
	s_delay_alu instid0(VALU_DEP_4) | instskip(SKIP_1) | instid1(VALU_DEP_4)
	v_mad_u32 v2, v69, v4, v119
	v_ashrrev_i32_e32 v4, 31, v4
	v_ashrrev_i32_e32 v17, 31, v16
	s_delay_alu instid0(VALU_DEP_4) | instskip(NEXT) | instid1(VALU_DEP_2)
	v_mul_lo_u32 v18, v5, s14
	v_lshl_add_u64 v[40:41], v[16:17], 4, v[32:33]
	s_delay_alu instid0(VALU_DEP_4) | instskip(NEXT) | instid1(VALU_DEP_3)
	v_mad_u32 v119, v68, v4, v2
	v_ashrrev_i32_e32 v19, 31, v18
	s_delay_alu instid0(VALU_DEP_1)
	v_lshl_add_u64 v[42:43], v[18:19], 4, v[36:37]
	s_branch .LBB0_129
.LBB0_128:                              ;   in Loop: Header=BB0_129 Depth=3
	s_or_b32 exec_lo, exec_lo, s9
	v_dual_lshlrev_b32 v5, 8, v62 :: v_dual_lshlrev_b32 v17, 8, v72
	v_dual_lshlrev_b32 v16, 16, v46 :: v_dual_lshlrev_b32 v18, 16, v44
	;; [unrolled: 1-line block ×3, first 2 shown]
	v_sub_nc_u32_e32 v61, v61, v86
	s_delay_alu instid0(VALU_DEP_3) | instskip(NEXT) | instid1(VALU_DEP_4)
	v_or3_b32 v2, v5, v2, v16
	v_or3_b32 v5, v17, v63, v18
	v_add_nc_u64_e32 v[118:119], v[118:119], v[86:87]
	v_lshl_add_u64 v[16:17], v[54:55], 4, v[42:43]
	v_add_nc_u32_e32 v54, v54, v20
	v_or3_b32 v2, v2, v19, 0
	v_or3_b32 v4, v5, v4, 0
	v_mov_b32_e32 v5, v3
	v_cmp_gt_i32_e32 vcc_lo, 1, v61
	global_store_b128 v[16:17], v[2:5], off
	s_or_b32 s19, vcc_lo, s19
	s_wait_xcnt 0x0
	s_and_not1_b32 exec_lo, exec_lo, s19
	s_cbranch_execz .LBB0_545
.LBB0_129:                              ;   Parent Loop BB0_36 Depth=1
                                        ;     Parent Loop BB0_85 Depth=2
                                        ; =>    This Loop Header: Depth=3
                                        ;         Child Loop BB0_137 Depth 4
	s_delay_alu instid0(VALU_DEP_3)
	v_dual_mov_b32 v5, v119 :: v_dual_bitop2_b32 v4, -4, v118 bitop3:0x40
	v_min_u32_e32 v16, 8, v61
	v_dual_mov_b32 v63, 0 :: v_dual_bitop2_b32 v17, 3, v118 bitop3:0x40
	v_mov_b32_e32 v72, 0
	global_load_b32 v2, v[4:5], off th:TH_LOAD_NT
	s_mov_b32 s9, exec_lo
	v_add_nc_u32_e32 v16, v17, v16
	s_wait_xcnt 0x0
	s_delay_alu instid0(VALU_DEP_1)
	v_cmpx_lt_u32_e32 4, v16
	s_cbranch_execz .LBB0_131
; %bb.130:                              ;   in Loop: Header=BB0_129 Depth=3
	global_load_b32 v72, v[4:5], off offset:4 th:TH_LOAD_NT
.LBB0_131:                              ;   in Loop: Header=BB0_129 Depth=3
	s_wait_xcnt 0x0
	s_or_b32 exec_lo, exec_lo, s9
	v_mov_b32_e32 v17, v55
	s_mov_b32 s9, exec_lo
	s_delay_alu instid0(VALU_DEP_1)
	v_cmpx_lt_u64_e32 8, v[16:17]
	s_cbranch_execz .LBB0_133
; %bb.132:                              ;   in Loop: Header=BB0_129 Depth=3
	global_load_b32 v63, v[4:5], off offset:8 th:TH_LOAD_NT
.LBB0_133:                              ;   in Loop: Header=BB0_129 Depth=3
	s_wait_xcnt 0x0
	s_or_b32 exec_lo, exec_lo, s9
	v_lshl_add_u64 v[4:5], v[54:55], 4, v[40:41]
	v_cmp_eq_u32_e32 vcc_lo, 0, v21
	v_mov_b32_e32 v21, 1
	global_load_b128 v[16:19], v[4:5], off th:TH_LOAD_NT
	s_wait_xcnt 0x0
	s_and_saveexec_b32 s20, vcc_lo
	s_cbranch_execz .LBB0_145
; %bb.134:                              ;   in Loop: Header=BB0_129 Depth=3
	s_wait_loadcnt 0x0
	v_cmp_ne_u32_e32 vcc_lo, v60, v17
	v_cmp_ne_u32_e64 s9, v60, v19
	v_mov_b32_e32 v21, 0
	s_or_b32 s9, vcc_lo, s9
	s_delay_alu instid0(SALU_CYCLE_1)
	s_and_saveexec_b32 s21, s9
	s_cbranch_execz .LBB0_144
; %bb.135:                              ;   in Loop: Header=BB0_129 Depth=3
	s_mov_b32 s25, 1
	s_mov_b32 s23, 0
                                        ; implicit-def: $sgpr22
                                        ; implicit-def: $sgpr24
	s_branch .LBB0_137
.LBB0_136:                              ;   in Loop: Header=BB0_137 Depth=4
	s_or_b32 exec_lo, exec_lo, s27
	s_delay_alu instid0(SALU_CYCLE_1) | instskip(NEXT) | instid1(SALU_CYCLE_1)
	s_and_b32 s9, exec_lo, s9
	s_or_b32 s23, s9, s23
	s_and_not1_b32 s9, s22, exec_lo
	s_and_b32 s22, s24, exec_lo
	s_delay_alu instid0(SALU_CYCLE_1)
	s_or_b32 s22, s9, s22
	s_and_not1_b32 exec_lo, exec_lo, s23
	s_cbranch_execz .LBB0_141
.LBB0_137:                              ;   Parent Loop BB0_36 Depth=1
                                        ;     Parent Loop BB0_85 Depth=2
                                        ;       Parent Loop BB0_129 Depth=3
                                        ; =>      This Inner Loop Header: Depth=4
	s_wait_loadcnt 0x0
	global_load_b128 v[16:19], v[4:5], off th:TH_LOAD_NT
	s_add_co_i32 s25, s25, 1
	s_mov_b32 s9, -1
	s_cmp_lg_u32 s25, 0x2710
	s_mov_b32 s26, -1
                                        ; implicit-def: $vgpr44
	s_cbranch_scc0 .LBB0_139
; %bb.138:                              ;   in Loop: Header=BB0_137 Depth=4
	s_or_b32 s24, s24, exec_lo
	s_wait_xcnt 0x0
	s_and_saveexec_b32 s27, s26
	s_cbranch_execz .LBB0_136
	s_branch .LBB0_140
.LBB0_139:                              ;   in Loop: Header=BB0_137 Depth=4
	s_trap 2
	ds_load_b64 v[44:45], v0
	s_mov_b32 s25, 0
	s_wait_storecnt 0x0
	s_wait_loadcnt_dscnt 0x0
	flat_load_b32 v44, v[44:45] scope:SCOPE_SYS
	s_wait_loadcnt_dscnt 0x0
	global_inv scope:SCOPE_SYS
	v_cmp_eq_u32_e32 vcc_lo, 0, v44
	s_or_not1_b32 s26, vcc_lo, exec_lo
	s_or_b32 s24, s24, exec_lo
	s_wait_xcnt 0x0
	s_and_saveexec_b32 s27, s26
	s_cbranch_execz .LBB0_136
.LBB0_140:                              ;   in Loop: Header=BB0_137 Depth=4
	s_wait_loadcnt 0x0
	v_cmp_eq_u32_e32 vcc_lo, v60, v17
	v_cmp_eq_u32_e64 s9, v60, v19
	s_and_not1_b32 s24, s24, exec_lo
	s_and_b32 s9, vcc_lo, s9
	s_delay_alu instid0(SALU_CYCLE_1)
	s_or_not1_b32 s9, s9, exec_lo
	s_branch .LBB0_136
.LBB0_141:                              ;   in Loop: Header=BB0_129 Depth=3
	s_or_b32 exec_lo, exec_lo, s23
	v_mov_b32_e32 v21, 0
	s_and_saveexec_b32 s9, s22
	s_delay_alu instid0(SALU_CYCLE_1)
	s_xor_b32 s9, exec_lo, s9
	s_cbranch_execz .LBB0_143
; %bb.142:                              ;   in Loop: Header=BB0_129 Depth=3
	v_mov_b32_e32 v21, 1
	s_wait_loadcnt 0x0
	s_wait_storecnt 0x0
	ds_store_b32 v0, v44
	s_trap 2
.LBB0_143:                              ;   in Loop: Header=BB0_129 Depth=3
	s_or_b32 exec_lo, exec_lo, s9
.LBB0_144:                              ;   in Loop: Header=BB0_129 Depth=3
	s_delay_alu instid0(SALU_CYCLE_1)
	s_or_b32 exec_lo, exec_lo, s21
.LBB0_145:                              ;   in Loop: Header=BB0_129 Depth=3
	s_delay_alu instid0(SALU_CYCLE_1) | instskip(SKIP_3) | instid1(VALU_DEP_2)
	s_or_b32 exec_lo, exec_lo, s20
	s_wait_loadcnt 0x0
	v_dual_lshlrev_b32 v19, 3, v118 :: v_dual_mov_b32 v5, v55
	v_and_b32_e32 v45, 0xff, v16
                                        ; implicit-def: $vgpr44
	v_alignbit_b32 v4, v72, v2, v19
	s_delay_alu instid0(VALU_DEP_2) | instskip(SKIP_1) | instid1(SALU_CYCLE_1)
	v_cmp_ne_u16_e32 vcc_lo, 0, v45
	s_and_saveexec_b32 s9, s6
	s_xor_b32 s20, exec_lo, s9
	s_cbranch_execz .LBB0_159
; %bb.146:                              ;   in Loop: Header=BB0_129 Depth=3
	v_dual_mov_b32 v44, 0 :: v_dual_mov_b32 v2, 0
	s_and_saveexec_b32 s21, vcc_lo
	s_cbranch_execz .LBB0_152
; %bb.147:                              ;   in Loop: Header=BB0_129 Depth=3
	v_bfrev_b32_e32 v2, 1
	s_mov_b32 s22, exec_lo
	v_cmpx_ne_u16_e32 0x80, v45
	s_cbranch_execz .LBB0_151
; %bb.148:                              ;   in Loop: Header=BB0_129 Depth=3
	v_and_b32_e32 v45, 0x7f, v16
	v_mov_b32_e32 v2, 0x7f800001
	s_mov_b32 s23, exec_lo
	s_delay_alu instid0(VALU_DEP_2)
	v_cmpx_ne_u32_e32 0x7f, v45
	s_cbranch_execz .LBB0_150
; %bb.149:                              ;   in Loop: Header=BB0_129 Depth=3
	v_dual_lshrrev_b32 v46, 3, v45 :: v_dual_bitop2_b32 v2, 7, v16 bitop3:0x40
	v_cmp_gt_u32_e64 s9, 8, v45
	s_delay_alu instid0(VALU_DEP_2) | instskip(NEXT) | instid1(VALU_DEP_1)
	v_clz_i32_u32_e32 v2, v2
	v_min_u32_e32 v2, 32, v2
	s_delay_alu instid0(VALU_DEP_1) | instskip(NEXT) | instid1(VALU_DEP_1)
	v_subrev_nc_u32_e32 v45, 28, v2
	v_dual_sub_nc_u32 v2, 29, v2 :: v_dual_cndmask_b32 v45, 0, v45, s9
	s_delay_alu instid0(VALU_DEP_1) | instskip(NEXT) | instid1(VALU_DEP_2)
	v_cndmask_b32_e64 v2, v46, v2, s9
	v_lshlrev_b64_e32 v[46:47], v45, v[16:17]
	s_delay_alu instid0(VALU_DEP_1) | instskip(NEXT) | instid1(VALU_DEP_3)
	v_dual_lshlrev_b32 v45, 20, v46 :: v_dual_lshlrev_b32 v46, 24, v16
	v_lshl_add_u32 v2, v2, 23, 0x3c000000
	s_delay_alu instid0(VALU_DEP_2) | instskip(NEXT) | instid1(VALU_DEP_3)
	v_and_b32_e32 v45, 0x700000, v45
	v_and_b32_e32 v46, 0x80000000, v46
	s_delay_alu instid0(VALU_DEP_1)
	v_or3_b32 v2, v45, v46, v2
.LBB0_150:                              ;   in Loop: Header=BB0_129 Depth=3
	s_or_b32 exec_lo, exec_lo, s23
.LBB0_151:                              ;   in Loop: Header=BB0_129 Depth=3
	s_delay_alu instid0(SALU_CYCLE_1)
	s_or_b32 exec_lo, exec_lo, s22
.LBB0_152:                              ;   in Loop: Header=BB0_129 Depth=3
	s_delay_alu instid0(SALU_CYCLE_1) | instskip(SKIP_2) | instid1(VALU_DEP_1)
	s_or_b32 exec_lo, exec_lo, s21
	v_and_b32_e32 v45, 0xff, v4
	s_mov_b32 s21, exec_lo
	v_cmpx_ne_u16_e32 0, v45
	s_cbranch_execz .LBB0_158
; %bb.153:                              ;   in Loop: Header=BB0_129 Depth=3
	v_bfrev_b32_e32 v44, 1
	s_mov_b32 s22, exec_lo
	v_cmpx_ne_u16_e32 0x80, v45
	s_cbranch_execz .LBB0_157
; %bb.154:                              ;   in Loop: Header=BB0_129 Depth=3
	v_and_b32_e32 v45, 0x7f, v4
	v_mov_b32_e32 v44, 0x7f800001
	s_mov_b32 s23, exec_lo
	s_delay_alu instid0(VALU_DEP_2)
	v_cmpx_ne_u32_e32 0x7f, v45
	s_cbranch_execz .LBB0_156
; %bb.155:                              ;   in Loop: Header=BB0_129 Depth=3
	v_dual_lshrrev_b32 v46, 3, v45 :: v_dual_bitop2_b32 v44, 7, v4 bitop3:0x40
	v_cmp_gt_u32_e64 s9, 8, v45
	s_delay_alu instid0(VALU_DEP_2) | instskip(NEXT) | instid1(VALU_DEP_1)
	v_clz_i32_u32_e32 v44, v44
	v_min_u32_e32 v44, 32, v44
	s_delay_alu instid0(VALU_DEP_1) | instskip(SKIP_1) | instid1(VALU_DEP_1)
	v_subrev_nc_u32_e32 v45, 28, v44
	v_sub_nc_u32_e32 v44, 29, v44
	v_dual_cndmask_b32 v46, v46, v44, s9 :: v_dual_cndmask_b32 v44, 0, v45, s9
	s_delay_alu instid0(VALU_DEP_1) | instskip(NEXT) | instid1(VALU_DEP_2)
	v_lshl_add_u32 v46, v46, 23, 0x3c000000
	v_lshlrev_b64_e32 v[44:45], v44, v[4:5]
	v_lshlrev_b32_e32 v45, 24, v4
	s_delay_alu instid0(VALU_DEP_1) | instskip(NEXT) | instid1(VALU_DEP_3)
	v_and_b32_e32 v45, 0x80000000, v45
	v_lshlrev_b32_e32 v44, 20, v44
	s_delay_alu instid0(VALU_DEP_1) | instskip(NEXT) | instid1(VALU_DEP_1)
	v_and_b32_e32 v44, 0x700000, v44
	v_or3_b32 v44, v44, v45, v46
.LBB0_156:                              ;   in Loop: Header=BB0_129 Depth=3
	s_or_b32 exec_lo, exec_lo, s23
.LBB0_157:                              ;   in Loop: Header=BB0_129 Depth=3
	s_delay_alu instid0(SALU_CYCLE_1)
	s_or_b32 exec_lo, exec_lo, s22
.LBB0_158:                              ;   in Loop: Header=BB0_129 Depth=3
	s_delay_alu instid0(SALU_CYCLE_1) | instskip(NEXT) | instid1(VALU_DEP_1)
	s_or_b32 exec_lo, exec_lo, s21
	v_dual_max_num_f32 v44, v44, v44 :: v_dual_max_num_f32 v2, v2, v2
                                        ; implicit-def: $vgpr45
	s_delay_alu instid0(VALU_DEP_1)
	v_max_num_f32_e32 v44, v2, v44
.LBB0_159:                              ;   in Loop: Header=BB0_129 Depth=3
	s_and_not1_saveexec_b32 s9, s20
	s_cbranch_execz .LBB0_173
; %bb.160:                              ;   in Loop: Header=BB0_129 Depth=3
	v_dual_mov_b32 v2, 0 :: v_dual_mov_b32 v44, 0
	s_and_saveexec_b32 s20, vcc_lo
	s_cbranch_execz .LBB0_166
; %bb.161:                              ;   in Loop: Header=BB0_129 Depth=3
	v_bfrev_b32_e32 v44, 1
	s_mov_b32 s21, exec_lo
	v_cmpx_ne_u16_e32 0x80, v45
	s_cbranch_execz .LBB0_165
; %bb.162:                              ;   in Loop: Header=BB0_129 Depth=3
	v_and_b32_e32 v45, 0x7f, v16
	v_mov_b32_e32 v44, 0x7f800001
	s_mov_b32 s22, exec_lo
	s_delay_alu instid0(VALU_DEP_2)
	v_cmpx_ne_u32_e32 0x7f, v45
	s_cbranch_execz .LBB0_164
; %bb.163:                              ;   in Loop: Header=BB0_129 Depth=3
	v_dual_lshrrev_b32 v46, 3, v45 :: v_dual_bitop2_b32 v44, 7, v16 bitop3:0x40
	v_cmp_gt_u32_e32 vcc_lo, 8, v45
	s_delay_alu instid0(VALU_DEP_2) | instskip(NEXT) | instid1(VALU_DEP_1)
	v_clz_i32_u32_e32 v44, v44
	v_min_u32_e32 v44, 32, v44
	s_delay_alu instid0(VALU_DEP_1) | instskip(SKIP_1) | instid1(VALU_DEP_1)
	v_subrev_nc_u32_e32 v45, 28, v44
	v_sub_nc_u32_e32 v44, 29, v44
	v_dual_cndmask_b32 v46, v46, v44, vcc_lo :: v_dual_cndmask_b32 v44, 0, v45, vcc_lo
	s_delay_alu instid0(VALU_DEP_1) | instskip(NEXT) | instid1(VALU_DEP_2)
	v_lshlrev_b64_e32 v[44:45], v44, v[16:17]
	v_lshl_add_u32 v45, v46, 23, 0x3c000000
	s_delay_alu instid0(VALU_DEP_2) | instskip(SKIP_1) | instid1(VALU_DEP_2)
	v_lshlrev_b32_e32 v17, 20, v44
	v_lshlrev_b32_e32 v44, 24, v16
	v_and_b32_e32 v17, 0x700000, v17
	s_delay_alu instid0(VALU_DEP_2) | instskip(NEXT) | instid1(VALU_DEP_1)
	v_and_b32_e32 v44, 0x80000000, v44
	v_or3_b32 v44, v17, v44, v45
.LBB0_164:                              ;   in Loop: Header=BB0_129 Depth=3
	s_or_b32 exec_lo, exec_lo, s22
.LBB0_165:                              ;   in Loop: Header=BB0_129 Depth=3
	s_delay_alu instid0(SALU_CYCLE_1)
	s_or_b32 exec_lo, exec_lo, s21
.LBB0_166:                              ;   in Loop: Header=BB0_129 Depth=3
	s_delay_alu instid0(SALU_CYCLE_1) | instskip(SKIP_2) | instid1(VALU_DEP_1)
	s_or_b32 exec_lo, exec_lo, s20
	v_and_b32_e32 v17, 0xff, v4
	s_mov_b32 s20, exec_lo
	v_cmpx_ne_u16_e32 0, v17
	s_cbranch_execz .LBB0_172
; %bb.167:                              ;   in Loop: Header=BB0_129 Depth=3
	v_bfrev_b32_e32 v2, 1
	s_mov_b32 s21, exec_lo
	v_cmpx_ne_u16_e32 0x80, v17
	s_cbranch_execz .LBB0_171
; %bb.168:                              ;   in Loop: Header=BB0_129 Depth=3
	v_and_b32_e32 v17, 0x7f, v4
	v_mov_b32_e32 v2, 0x7f800001
	s_mov_b32 s22, exec_lo
	s_delay_alu instid0(VALU_DEP_2)
	v_cmpx_ne_u32_e32 0x7f, v17
	s_cbranch_execz .LBB0_170
; %bb.169:                              ;   in Loop: Header=BB0_129 Depth=3
	v_dual_lshrrev_b32 v45, 3, v17 :: v_dual_bitop2_b32 v2, 7, v4 bitop3:0x40
	v_cmp_gt_u32_e32 vcc_lo, 8, v17
	s_delay_alu instid0(VALU_DEP_2) | instskip(NEXT) | instid1(VALU_DEP_1)
	v_clz_i32_u32_e32 v2, v2
	v_min_u32_e32 v2, 32, v2
	s_delay_alu instid0(VALU_DEP_1) | instskip(SKIP_1) | instid1(VALU_DEP_2)
	v_subrev_nc_u32_e32 v46, 28, v2
	v_sub_nc_u32_e32 v2, 29, v2
	v_cndmask_b32_e32 v17, 0, v46, vcc_lo
	s_delay_alu instid0(VALU_DEP_1) | instskip(NEXT) | instid1(VALU_DEP_3)
	v_lshlrev_b64_e32 v[46:47], v17, v[4:5]
	v_dual_cndmask_b32 v2, v45, v2 :: v_dual_lshlrev_b32 v5, 24, v4
	s_delay_alu instid0(VALU_DEP_1) | instskip(NEXT) | instid1(VALU_DEP_3)
	v_and_b32_e32 v5, 0x80000000, v5
	v_lshlrev_b32_e32 v17, 20, v46
	s_delay_alu instid0(VALU_DEP_3) | instskip(NEXT) | instid1(VALU_DEP_2)
	v_lshl_add_u32 v2, v2, 23, 0x3c000000
	v_and_b32_e32 v17, 0x700000, v17
	s_delay_alu instid0(VALU_DEP_1)
	v_or3_b32 v2, v17, v5, v2
.LBB0_170:                              ;   in Loop: Header=BB0_129 Depth=3
	s_or_b32 exec_lo, exec_lo, s22
.LBB0_171:                              ;   in Loop: Header=BB0_129 Depth=3
	s_delay_alu instid0(SALU_CYCLE_1)
	s_or_b32 exec_lo, exec_lo, s21
.LBB0_172:                              ;   in Loop: Header=BB0_129 Depth=3
	s_delay_alu instid0(SALU_CYCLE_1) | instskip(NEXT) | instid1(VALU_DEP_1)
	s_or_b32 exec_lo, exec_lo, s20
	v_dual_max_num_f32 v2, v2, v2 :: v_dual_max_num_f32 v5, v44, v44
	s_delay_alu instid0(VALU_DEP_1)
	v_min_num_f32_e32 v44, v5, v2
.LBB0_173:                              ;   in Loop: Header=BB0_129 Depth=3
	s_or_b32 exec_lo, exec_lo, s9
	s_delay_alu instid0(VALU_DEP_1) | instskip(SKIP_2) | instid1(VALU_DEP_1)
	v_and_b32_e32 v46, 0x7f800000, v44
	v_dual_mov_b32 v47, v55 :: v_dual_lshrrev_b32 v5, 24, v44
                                        ; implicit-def: $vgpr2
	s_mov_b32 s9, exec_lo
	v_cmpx_ne_u64_e32 0x7f800000, v[46:47]
	s_xor_b32 s20, exec_lo, s9
	s_cbranch_execz .LBB0_187
; %bb.174:                              ;   in Loop: Header=BB0_129 Depth=3
	v_and_b32_e32 v46, 0x7fffffff, v44
	v_mov_b32_e32 v47, v55
	v_and_b32_e32 v5, 0x80, v5
                                        ; implicit-def: $vgpr2
	s_mov_b32 s9, exec_lo
	s_delay_alu instid0(VALU_DEP_2)
	v_cmpx_gt_u64_e32 0x43e00001, v[46:47]
	s_xor_b32 s21, exec_lo, s9
	s_cbranch_execz .LBB0_184
; %bb.175:                              ;   in Loop: Header=BB0_129 Depth=3
	v_mov_b32_e32 v2, 0
	s_mov_b32 s22, exec_lo
	v_cmpx_ne_u32_e32 0, v44
	s_cbranch_execz .LBB0_183
; %bb.176:                              ;   in Loop: Header=BB0_129 Depth=3
	v_bfe_u32 v2, v44, 23, 8
	v_and_b32_e32 v46, 0x7fffff, v44
	s_mov_b32 s23, exec_lo
	s_delay_alu instid0(VALU_DEP_2) | instskip(SKIP_3) | instid1(VALU_DEP_1)
	v_sub_nc_u32_e32 v17, 0x79, v2
	v_cmp_gt_u32_e64 s9, 0x7a, v2
	v_cmp_eq_u32_e32 vcc_lo, 0, v2
	v_or_b32_e32 v47, 0x800000, v46
	v_dual_cndmask_b32 v17, 0, v17, s9 :: v_dual_cndmask_b32 v46, v47, v46, vcc_lo
	v_mov_b32_e32 v47, v55
	s_delay_alu instid0(VALU_DEP_2) | instskip(NEXT) | instid1(VALU_DEP_1)
	v_cndmask_b32_e64 v17, v17, 0x78, vcc_lo
	v_dual_add_nc_u32 v44, 20, v17 :: v_dual_add_nc_u32 v62, 19, v17
	s_delay_alu instid0(VALU_DEP_1) | instskip(NEXT) | instid1(VALU_DEP_2)
	v_lshlrev_b64_e64 v[44:45], v44, -1
	v_lshlrev_b64_e64 v[74:75], v62, 1
	s_delay_alu instid0(VALU_DEP_2) | instskip(NEXT) | instid1(VALU_DEP_3)
	v_bfi_b32 v77, v45, 0, 0
	v_bfi_b32 v76, v44, 0, v46
	v_lshrrev_b64 v[44:45], v17, v[46:47]
	s_delay_alu instid0(VALU_DEP_1) | instskip(NEXT) | instid1(VALU_DEP_3)
	v_mov_b64_e32 v[46:47], v[44:45]
	v_cmpx_eq_u64_e64 v[76:77], v[74:75]
; %bb.177:                              ;   in Loop: Header=BB0_129 Depth=3
	v_bfe_u32 v46, v44, 20, 1
	v_mov_b32_e32 v47, v55
	s_delay_alu instid0(VALU_DEP_1) | instskip(NEXT) | instid1(VALU_DEP_1)
	v_add_nc_u64_e32 v[46:47], v[44:45], v[46:47]
	v_add_nc_u64_e32 v[46:47], -1, v[46:47]
; %bb.178:                              ;   in Loop: Header=BB0_129 Depth=3
	s_or_b32 exec_lo, exec_lo, s23
	v_add_nc_u32_e32 v2, 0xffffff81, v2
	v_lshrrev_b32_e32 v45, 23, v44
	s_mov_b32 s9, exec_lo
	s_delay_alu instid0(VALU_DEP_2) | instskip(NEXT) | instid1(VALU_DEP_1)
	v_cndmask_b32_e64 v2, v2, 0xffffff82, vcc_lo
	v_add3_u32 v17, v17, v2, v45
	v_and_b32_e32 v2, 0xfffff, v46
	s_delay_alu instid0(VALU_DEP_2) | instskip(NEXT) | instid1(VALU_DEP_2)
	v_dual_mov_b32 v45, v55 :: v_dual_add_nc_u32 v46, 6, v17
	v_add_nc_u32_e32 v44, v2, v44
                                        ; implicit-def: $vgpr2
	s_delay_alu instid0(VALU_DEP_2)
	v_cmpx_ne_u32_e32 0, v46
	s_xor_b32 s9, exec_lo, s9
; %bb.179:                              ;   in Loop: Header=BB0_129 Depth=3
	s_delay_alu instid0(VALU_DEP_2) | instskip(SKIP_2) | instid1(VALU_DEP_2)
	v_cmp_lt_u64_e32 vcc_lo, 0xffffff, v[44:45]
	v_add_nc_u32_e32 v2, 7, v17
	v_cndmask_b32_e64 v17, 0, 1, vcc_lo
	v_cndmask_b32_e32 v2, v46, v2, vcc_lo
	s_delay_alu instid0(VALU_DEP_2)
	v_lshrrev_b64 v[44:45], v17, v[44:45]
; %bb.180:                              ;   in Loop: Header=BB0_129 Depth=3
	s_and_not1_saveexec_b32 s9, s9
; %bb.181:                              ;   in Loop: Header=BB0_129 Depth=3
	s_delay_alu instid0(VALU_DEP_1)
	v_bfe_u32 v2, v44, 23, 1
; %bb.182:                              ;   in Loop: Header=BB0_129 Depth=3
	s_or_b32 exec_lo, exec_lo, s9
	s_delay_alu instid0(VALU_DEP_2) | instskip(NEXT) | instid1(VALU_DEP_2)
	v_lshrrev_b64 v[44:45], 20, v[44:45]
	v_cmp_gt_i32_e32 vcc_lo, 16, v2
	v_min_i32_e32 v17, 15, v2
	v_cmp_eq_u32_e64 s9, 0, v2
	s_delay_alu instid0(VALU_DEP_4) | instskip(NEXT) | instid1(VALU_DEP_3)
	v_cndmask_b32_e32 v45, 0, v45, vcc_lo
	v_dual_cndmask_b32 v44, 7, v44 :: v_dual_lshlrev_b32 v17, 3, v17
	s_delay_alu instid0(VALU_DEP_1) | instskip(NEXT) | instid1(VALU_DEP_2)
	v_and_b32_e32 v17, 0xf8, v17
	v_cmp_eq_u64_e32 vcc_lo, 0, v[44:45]
	s_delay_alu instid0(VALU_DEP_2)
	v_and_or_b32 v2, v44, 7, v17
	s_and_b32 s9, s9, vcc_lo
	s_delay_alu instid0(VALU_DEP_1) | instid1(SALU_CYCLE_1)
	v_cndmask_b32_e64 v2, v2, 0, s9
	s_delay_alu instid0(VALU_DEP_1)
	v_or_b32_e32 v2, v2, v5
.LBB0_183:                              ;   in Loop: Header=BB0_129 Depth=3
	s_or_b32 exec_lo, exec_lo, s22
                                        ; implicit-def: $vgpr5
.LBB0_184:                              ;   in Loop: Header=BB0_129 Depth=3
	s_and_not1_saveexec_b32 s9, s21
; %bb.185:                              ;   in Loop: Header=BB0_129 Depth=3
	v_or_b32_e32 v2, 0x7e, v5
; %bb.186:                              ;   in Loop: Header=BB0_129 Depth=3
	s_or_b32 exec_lo, exec_lo, s9
                                        ; implicit-def: $vgpr5
.LBB0_187:                              ;   in Loop: Header=BB0_129 Depth=3
	s_and_not1_saveexec_b32 s9, s20
; %bb.188:                              ;   in Loop: Header=BB0_129 Depth=3
	v_or_b32_e32 v2, 0x7f, v5
; %bb.189:                              ;   in Loop: Header=BB0_129 Depth=3
	s_or_b32 exec_lo, exec_lo, s9
	v_lshrrev_b16 v44, 8, v16
	v_lshrrev_b16 v5, 8, v4
                                        ; implicit-def: $vgpr17
	s_delay_alu instid0(VALU_DEP_2) | instskip(SKIP_1) | instid1(SALU_CYCLE_1)
	v_cmp_ne_u16_e32 vcc_lo, 0, v44
	s_and_saveexec_b32 s9, s6
	s_xor_b32 s20, exec_lo, s9
	s_cbranch_execz .LBB0_207
; %bb.190:                              ;   in Loop: Header=BB0_129 Depth=3
	v_dual_mov_b32 v46, 0 :: v_dual_mov_b32 v17, 0
	s_and_saveexec_b32 s21, vcc_lo
	s_cbranch_execz .LBB0_198
; %bb.191:                              ;   in Loop: Header=BB0_129 Depth=3
	v_bfrev_b32_e32 v17, 1
	s_mov_b32 s22, exec_lo
	v_cmpx_ne_u16_e32 0x80, v44
	s_cbranch_execz .LBB0_197
; %bb.192:                              ;   in Loop: Header=BB0_129 Depth=3
	v_and_b32_e32 v44, 0xffff, v44
	v_mov_b32_e32 v17, 0x7f800001
	s_mov_b32 s23, exec_lo
	s_delay_alu instid0(VALU_DEP_2) | instskip(NEXT) | instid1(VALU_DEP_1)
	v_and_b32_e32 v47, 0x7f, v44
	v_cmpx_ne_u32_e32 0x7f, v47
	s_cbranch_execz .LBB0_196
; %bb.193:                              ;   in Loop: Header=BB0_129 Depth=3
	v_dual_mov_b32 v45, v55 :: v_dual_bitop2_b32 v44, 7, v44 bitop3:0x40
	v_lshrrev_b32_e32 v17, 3, v47
	s_mov_b32 s24, exec_lo
	v_cmpx_gt_u32_e32 8, v47
; %bb.194:                              ;   in Loop: Header=BB0_129 Depth=3
	s_delay_alu instid0(VALU_DEP_3) | instskip(NEXT) | instid1(VALU_DEP_1)
	v_clz_i32_u32_e32 v17, v44
	v_min_u32_e32 v17, 32, v17
	s_delay_alu instid0(VALU_DEP_1) | instskip(NEXT) | instid1(VALU_DEP_1)
	v_subrev_nc_u32_e32 v47, 28, v17
	v_lshlrev_b64_e32 v[44:45], v47, v[44:45]
	s_delay_alu instid0(VALU_DEP_1)
	v_dual_sub_nc_u32 v17, 29, v17 :: v_dual_bitop2_b32 v44, 7, v44 bitop3:0x40
; %bb.195:                              ;   in Loop: Header=BB0_129 Depth=3
	s_or_b32 exec_lo, exec_lo, s24
	v_lshlrev_b32_e32 v45, 16, v16
	s_delay_alu instid0(VALU_DEP_2) | instskip(NEXT) | instid1(VALU_DEP_3)
	v_lshlrev_b32_e32 v44, 20, v44
	v_lshl_add_u32 v17, v17, 23, 0x3c000000
	s_delay_alu instid0(VALU_DEP_3) | instskip(NEXT) | instid1(VALU_DEP_1)
	v_and_b32_e32 v45, 0x80000000, v45
	v_or3_b32 v17, v44, v45, v17
.LBB0_196:                              ;   in Loop: Header=BB0_129 Depth=3
	s_or_b32 exec_lo, exec_lo, s23
.LBB0_197:                              ;   in Loop: Header=BB0_129 Depth=3
	s_delay_alu instid0(SALU_CYCLE_1)
	s_or_b32 exec_lo, exec_lo, s22
.LBB0_198:                              ;   in Loop: Header=BB0_129 Depth=3
	s_delay_alu instid0(SALU_CYCLE_1) | instskip(NEXT) | instid1(SALU_CYCLE_1)
	s_or_b32 exec_lo, exec_lo, s21
	s_mov_b32 s21, exec_lo
	v_cmpx_ne_u16_e32 0, v5
	s_cbranch_execz .LBB0_206
; %bb.199:                              ;   in Loop: Header=BB0_129 Depth=3
	v_bfrev_b32_e32 v46, 1
	s_mov_b32 s22, exec_lo
	v_cmpx_ne_u16_e32 0x80, v5
	s_cbranch_execz .LBB0_205
; %bb.200:                              ;   in Loop: Header=BB0_129 Depth=3
	v_and_b32_e32 v5, 0xffff, v5
	v_mov_b32_e32 v46, 0x7f800001
	s_mov_b32 s23, exec_lo
	s_delay_alu instid0(VALU_DEP_2) | instskip(NEXT) | instid1(VALU_DEP_1)
	v_and_b32_e32 v47, 0x7f, v5
	v_cmpx_ne_u32_e32 0x7f, v47
	s_cbranch_execz .LBB0_204
; %bb.201:                              ;   in Loop: Header=BB0_129 Depth=3
	v_dual_mov_b32 v45, v55 :: v_dual_bitop2_b32 v44, 7, v5 bitop3:0x40
	v_lshrrev_b32_e32 v5, 3, v47
	s_mov_b32 s24, exec_lo
	v_cmpx_gt_u32_e32 8, v47
; %bb.202:                              ;   in Loop: Header=BB0_129 Depth=3
	s_delay_alu instid0(VALU_DEP_3) | instskip(NEXT) | instid1(VALU_DEP_1)
	v_clz_i32_u32_e32 v5, v44
	v_min_u32_e32 v5, 32, v5
	s_delay_alu instid0(VALU_DEP_1) | instskip(NEXT) | instid1(VALU_DEP_1)
	v_subrev_nc_u32_e32 v46, 28, v5
	v_lshlrev_b64_e32 v[44:45], v46, v[44:45]
	s_delay_alu instid0(VALU_DEP_1)
	v_dual_sub_nc_u32 v5, 29, v5 :: v_dual_bitop2_b32 v44, 7, v44 bitop3:0x40
; %bb.203:                              ;   in Loop: Header=BB0_129 Depth=3
	s_or_b32 exec_lo, exec_lo, s24
	v_lshlrev_b32_e32 v45, 16, v4
	s_delay_alu instid0(VALU_DEP_2) | instskip(NEXT) | instid1(VALU_DEP_3)
	v_lshlrev_b32_e32 v44, 20, v44
	v_lshl_add_u32 v5, v5, 23, 0x3c000000
	s_delay_alu instid0(VALU_DEP_3) | instskip(NEXT) | instid1(VALU_DEP_1)
	v_and_b32_e32 v45, 0x80000000, v45
	v_or3_b32 v46, v44, v45, v5
.LBB0_204:                              ;   in Loop: Header=BB0_129 Depth=3
	s_or_b32 exec_lo, exec_lo, s23
.LBB0_205:                              ;   in Loop: Header=BB0_129 Depth=3
	s_delay_alu instid0(SALU_CYCLE_1)
	s_or_b32 exec_lo, exec_lo, s22
.LBB0_206:                              ;   in Loop: Header=BB0_129 Depth=3
	s_delay_alu instid0(SALU_CYCLE_1) | instskip(NEXT) | instid1(VALU_DEP_1)
	s_or_b32 exec_lo, exec_lo, s21
	v_dual_max_num_f32 v5, v46, v46 :: v_dual_max_num_f32 v17, v17, v17
                                        ; implicit-def: $vgpr44
	s_delay_alu instid0(VALU_DEP_1)
	v_max_num_f32_e32 v17, v17, v5
                                        ; implicit-def: $vgpr5
.LBB0_207:                              ;   in Loop: Header=BB0_129 Depth=3
	s_and_not1_saveexec_b32 s9, s20
	s_cbranch_execz .LBB0_225
; %bb.208:                              ;   in Loop: Header=BB0_129 Depth=3
	v_dual_mov_b32 v46, 0 :: v_dual_mov_b32 v17, 0
	s_and_saveexec_b32 s20, vcc_lo
	s_cbranch_execz .LBB0_216
; %bb.209:                              ;   in Loop: Header=BB0_129 Depth=3
	v_bfrev_b32_e32 v17, 1
	s_mov_b32 s21, exec_lo
	v_cmpx_ne_u16_e32 0x80, v44
	s_cbranch_execz .LBB0_215
; %bb.210:                              ;   in Loop: Header=BB0_129 Depth=3
	v_and_b32_e32 v44, 0xffff, v44
	v_mov_b32_e32 v17, 0x7f800001
	s_mov_b32 s22, exec_lo
	s_delay_alu instid0(VALU_DEP_2) | instskip(NEXT) | instid1(VALU_DEP_1)
	v_and_b32_e32 v47, 0x7f, v44
	v_cmpx_ne_u32_e32 0x7f, v47
	s_cbranch_execz .LBB0_214
; %bb.211:                              ;   in Loop: Header=BB0_129 Depth=3
	v_dual_mov_b32 v45, v55 :: v_dual_bitop2_b32 v44, 7, v44 bitop3:0x40
	v_lshrrev_b32_e32 v17, 3, v47
	s_mov_b32 s23, exec_lo
	v_cmpx_gt_u32_e32 8, v47
; %bb.212:                              ;   in Loop: Header=BB0_129 Depth=3
	s_delay_alu instid0(VALU_DEP_3) | instskip(NEXT) | instid1(VALU_DEP_1)
	v_clz_i32_u32_e32 v17, v44
	v_min_u32_e32 v17, 32, v17
	s_delay_alu instid0(VALU_DEP_1) | instskip(NEXT) | instid1(VALU_DEP_1)
	v_subrev_nc_u32_e32 v47, 28, v17
	v_lshlrev_b64_e32 v[44:45], v47, v[44:45]
	s_delay_alu instid0(VALU_DEP_1)
	v_dual_sub_nc_u32 v17, 29, v17 :: v_dual_bitop2_b32 v44, 7, v44 bitop3:0x40
; %bb.213:                              ;   in Loop: Header=BB0_129 Depth=3
	s_or_b32 exec_lo, exec_lo, s23
	v_lshlrev_b32_e32 v45, 16, v16
	s_delay_alu instid0(VALU_DEP_2) | instskip(NEXT) | instid1(VALU_DEP_3)
	v_lshlrev_b32_e32 v44, 20, v44
	v_lshl_add_u32 v17, v17, 23, 0x3c000000
	s_delay_alu instid0(VALU_DEP_3) | instskip(NEXT) | instid1(VALU_DEP_1)
	v_and_b32_e32 v45, 0x80000000, v45
	v_or3_b32 v17, v44, v45, v17
.LBB0_214:                              ;   in Loop: Header=BB0_129 Depth=3
	s_or_b32 exec_lo, exec_lo, s22
.LBB0_215:                              ;   in Loop: Header=BB0_129 Depth=3
	s_delay_alu instid0(SALU_CYCLE_1)
	s_or_b32 exec_lo, exec_lo, s21
.LBB0_216:                              ;   in Loop: Header=BB0_129 Depth=3
	s_delay_alu instid0(SALU_CYCLE_1) | instskip(NEXT) | instid1(SALU_CYCLE_1)
	s_or_b32 exec_lo, exec_lo, s20
	s_mov_b32 s20, exec_lo
	v_cmpx_ne_u16_e32 0, v5
	s_cbranch_execz .LBB0_224
; %bb.217:                              ;   in Loop: Header=BB0_129 Depth=3
	v_bfrev_b32_e32 v46, 1
	s_mov_b32 s21, exec_lo
	v_cmpx_ne_u16_e32 0x80, v5
	s_cbranch_execz .LBB0_223
; %bb.218:                              ;   in Loop: Header=BB0_129 Depth=3
	v_and_b32_e32 v5, 0xffff, v5
	v_mov_b32_e32 v46, 0x7f800001
	s_mov_b32 s22, exec_lo
	s_delay_alu instid0(VALU_DEP_2) | instskip(NEXT) | instid1(VALU_DEP_1)
	v_and_b32_e32 v47, 0x7f, v5
	v_cmpx_ne_u32_e32 0x7f, v47
	s_cbranch_execz .LBB0_222
; %bb.219:                              ;   in Loop: Header=BB0_129 Depth=3
	v_dual_mov_b32 v45, v55 :: v_dual_bitop2_b32 v44, 7, v5 bitop3:0x40
	v_lshrrev_b32_e32 v5, 3, v47
	s_mov_b32 s23, exec_lo
	v_cmpx_gt_u32_e32 8, v47
; %bb.220:                              ;   in Loop: Header=BB0_129 Depth=3
	s_delay_alu instid0(VALU_DEP_3) | instskip(NEXT) | instid1(VALU_DEP_1)
	v_clz_i32_u32_e32 v5, v44
	v_min_u32_e32 v5, 32, v5
	s_delay_alu instid0(VALU_DEP_1) | instskip(NEXT) | instid1(VALU_DEP_1)
	v_subrev_nc_u32_e32 v46, 28, v5
	v_lshlrev_b64_e32 v[44:45], v46, v[44:45]
	s_delay_alu instid0(VALU_DEP_1)
	v_dual_sub_nc_u32 v5, 29, v5 :: v_dual_bitop2_b32 v44, 7, v44 bitop3:0x40
; %bb.221:                              ;   in Loop: Header=BB0_129 Depth=3
	s_or_b32 exec_lo, exec_lo, s23
	v_lshlrev_b32_e32 v45, 16, v4
	s_delay_alu instid0(VALU_DEP_2) | instskip(NEXT) | instid1(VALU_DEP_3)
	v_lshlrev_b32_e32 v44, 20, v44
	v_lshl_add_u32 v5, v5, 23, 0x3c000000
	s_delay_alu instid0(VALU_DEP_3) | instskip(NEXT) | instid1(VALU_DEP_1)
	v_and_b32_e32 v45, 0x80000000, v45
	v_or3_b32 v46, v44, v45, v5
.LBB0_222:                              ;   in Loop: Header=BB0_129 Depth=3
	s_or_b32 exec_lo, exec_lo, s22
.LBB0_223:                              ;   in Loop: Header=BB0_129 Depth=3
	s_delay_alu instid0(SALU_CYCLE_1)
	s_or_b32 exec_lo, exec_lo, s21
.LBB0_224:                              ;   in Loop: Header=BB0_129 Depth=3
	s_delay_alu instid0(SALU_CYCLE_1) | instskip(NEXT) | instid1(VALU_DEP_1)
	s_or_b32 exec_lo, exec_lo, s20
	v_dual_max_num_f32 v5, v46, v46 :: v_dual_max_num_f32 v17, v17, v17
	s_delay_alu instid0(VALU_DEP_1)
	v_min_num_f32_e32 v17, v17, v5
.LBB0_225:                              ;   in Loop: Header=BB0_129 Depth=3
	s_or_b32 exec_lo, exec_lo, s9
	s_delay_alu instid0(VALU_DEP_1) | instskip(SKIP_2) | instid1(VALU_DEP_1)
	v_and_b32_e32 v44, 0x7f800000, v17
	v_dual_mov_b32 v45, v55 :: v_dual_lshrrev_b32 v5, 24, v17
                                        ; implicit-def: $vgpr62
	s_mov_b32 s9, exec_lo
	v_cmpx_ne_u64_e32 0x7f800000, v[44:45]
	s_xor_b32 s20, exec_lo, s9
	s_cbranch_execz .LBB0_239
; %bb.226:                              ;   in Loop: Header=BB0_129 Depth=3
	v_and_b32_e32 v44, 0x7fffffff, v17
	v_mov_b32_e32 v45, v55
	v_and_b32_e32 v5, 0x80, v5
                                        ; implicit-def: $vgpr62
	s_mov_b32 s9, exec_lo
	s_delay_alu instid0(VALU_DEP_2)
	v_cmpx_gt_u64_e32 0x43e00001, v[44:45]
	s_xor_b32 s21, exec_lo, s9
	s_cbranch_execz .LBB0_236
; %bb.227:                              ;   in Loop: Header=BB0_129 Depth=3
	v_mov_b32_e32 v62, 0
	s_mov_b32 s22, exec_lo
	v_cmpx_ne_u32_e32 0, v17
	s_cbranch_execz .LBB0_235
; %bb.228:                              ;   in Loop: Header=BB0_129 Depth=3
	v_bfe_u32 v62, v17, 23, 8
	v_and_b32_e32 v17, 0x7fffff, v17
	s_mov_b32 s23, exec_lo
	s_delay_alu instid0(VALU_DEP_2) | instskip(SKIP_1) | instid1(VALU_DEP_3)
	v_dual_mov_b32 v47, v55 :: v_dual_sub_nc_u32 v44, 0x79, v62
	v_cmp_gt_u32_e32 vcc_lo, 0x7a, v62
	v_or_b32_e32 v46, 0x800000, v17
	s_delay_alu instid0(VALU_DEP_3) | instskip(SKIP_1) | instid1(VALU_DEP_2)
	v_cndmask_b32_e32 v44, 0, v44, vcc_lo
	v_cmp_eq_u32_e32 vcc_lo, 0, v62
	v_cndmask_b32_e64 v73, v44, 0x78, vcc_lo
	s_delay_alu instid0(VALU_DEP_4) | instskip(NEXT) | instid1(VALU_DEP_2)
	v_cndmask_b32_e32 v46, v46, v17, vcc_lo
	v_dual_add_nc_u32 v44, 20, v73 :: v_dual_add_nc_u32 v74, 19, v73
	s_delay_alu instid0(VALU_DEP_1) | instskip(NEXT) | instid1(VALU_DEP_2)
	v_lshlrev_b64_e64 v[44:45], v44, -1
	v_lshlrev_b64_e64 v[74:75], v74, 1
	s_delay_alu instid0(VALU_DEP_2) | instskip(NEXT) | instid1(VALU_DEP_3)
	v_bfi_b32 v77, v45, 0, 0
	v_bfi_b32 v76, v44, 0, v46
	v_lshrrev_b64 v[44:45], v73, v[46:47]
	s_delay_alu instid0(VALU_DEP_1) | instskip(NEXT) | instid1(VALU_DEP_3)
	v_mov_b64_e32 v[46:47], v[44:45]
	v_cmpx_eq_u64_e64 v[76:77], v[74:75]
; %bb.229:                              ;   in Loop: Header=BB0_129 Depth=3
	v_bfe_u32 v46, v44, 20, 1
	v_mov_b32_e32 v47, v55
	s_delay_alu instid0(VALU_DEP_1) | instskip(NEXT) | instid1(VALU_DEP_1)
	v_add_nc_u64_e32 v[46:47], v[44:45], v[46:47]
	v_add_nc_u64_e32 v[46:47], -1, v[46:47]
; %bb.230:                              ;   in Loop: Header=BB0_129 Depth=3
	s_or_b32 exec_lo, exec_lo, s23
	v_add_nc_u32_e32 v17, 0xffffff81, v62
	v_lshrrev_b32_e32 v45, 23, v44
	s_mov_b32 s9, exec_lo
	s_delay_alu instid0(VALU_DEP_2) | instskip(NEXT) | instid1(VALU_DEP_1)
	v_cndmask_b32_e64 v17, v17, 0xffffff82, vcc_lo
	v_add3_u32 v47, v73, v17, v45
	v_and_b32_e32 v17, 0xfffff, v46
	s_delay_alu instid0(VALU_DEP_2) | instskip(NEXT) | instid1(VALU_DEP_2)
	v_dual_mov_b32 v45, v55 :: v_dual_add_nc_u32 v46, 6, v47
	v_add_nc_u32_e32 v44, v17, v44
                                        ; implicit-def: $vgpr17
	s_delay_alu instid0(VALU_DEP_2)
	v_cmpx_ne_u32_e32 0, v46
	s_xor_b32 s9, exec_lo, s9
; %bb.231:                              ;   in Loop: Header=BB0_129 Depth=3
	s_delay_alu instid0(VALU_DEP_2) | instskip(SKIP_1) | instid1(VALU_DEP_1)
	v_cmp_lt_u64_e32 vcc_lo, 0xffffff, v[44:45]
	v_add_nc_u32_e32 v17, 7, v47
	v_cndmask_b32_e32 v17, v46, v17, vcc_lo
	v_cndmask_b32_e64 v46, 0, 1, vcc_lo
	s_delay_alu instid0(VALU_DEP_1)
	v_lshrrev_b64 v[44:45], v46, v[44:45]
; %bb.232:                              ;   in Loop: Header=BB0_129 Depth=3
	s_and_not1_saveexec_b32 s9, s9
; %bb.233:                              ;   in Loop: Header=BB0_129 Depth=3
	s_delay_alu instid0(VALU_DEP_1)
	v_bfe_u32 v17, v44, 23, 1
; %bb.234:                              ;   in Loop: Header=BB0_129 Depth=3
	s_or_b32 exec_lo, exec_lo, s9
	s_delay_alu instid0(VALU_DEP_2) | instskip(NEXT) | instid1(VALU_DEP_2)
	v_lshrrev_b64 v[44:45], 20, v[44:45]
	v_cmp_gt_i32_e32 vcc_lo, 16, v17
	v_min_i32_e32 v46, 15, v17
	v_cmp_eq_u32_e64 s9, 0, v17
	s_delay_alu instid0(VALU_DEP_2) | instskip(SKIP_1) | instid1(VALU_DEP_2)
	v_dual_cndmask_b32 v44, 7, v44, vcc_lo :: v_dual_lshlrev_b32 v46, 3, v46
	v_cndmask_b32_e32 v45, 0, v45, vcc_lo
	v_and_b32_e32 v46, 0xf8, v46
	s_delay_alu instid0(VALU_DEP_2) | instskip(NEXT) | instid1(VALU_DEP_2)
	v_cmp_eq_u64_e32 vcc_lo, 0, v[44:45]
	v_and_or_b32 v17, v44, 7, v46
	s_and_b32 s9, s9, vcc_lo
	s_delay_alu instid0(VALU_DEP_1) | instid1(SALU_CYCLE_1)
	v_cndmask_b32_e64 v17, v17, 0, s9
	s_delay_alu instid0(VALU_DEP_1)
	v_or_b32_e32 v62, v17, v5
.LBB0_235:                              ;   in Loop: Header=BB0_129 Depth=3
	s_or_b32 exec_lo, exec_lo, s22
                                        ; implicit-def: $vgpr5
.LBB0_236:                              ;   in Loop: Header=BB0_129 Depth=3
	s_and_not1_saveexec_b32 s9, s21
; %bb.237:                              ;   in Loop: Header=BB0_129 Depth=3
	v_or_b32_e32 v62, 0x7e, v5
; %bb.238:                              ;   in Loop: Header=BB0_129 Depth=3
	s_or_b32 exec_lo, exec_lo, s9
                                        ; implicit-def: $vgpr5
.LBB0_239:                              ;   in Loop: Header=BB0_129 Depth=3
	s_and_not1_saveexec_b32 s9, s20
; %bb.240:                              ;   in Loop: Header=BB0_129 Depth=3
	v_or_b32_e32 v62, 0x7f, v5
; %bb.241:                              ;   in Loop: Header=BB0_129 Depth=3
	s_or_b32 exec_lo, exec_lo, s9
	v_lshrrev_b32_e32 v17, 16, v16
	v_lshrrev_b32_e32 v5, 16, v4
                                        ; implicit-def: $vgpr44
	s_delay_alu instid0(VALU_DEP_2) | instskip(NEXT) | instid1(VALU_DEP_1)
	v_and_b32_e32 v45, 0xff, v17
	v_cmp_ne_u16_e32 vcc_lo, 0, v45
	s_and_saveexec_b32 s9, s6
	s_delay_alu instid0(SALU_CYCLE_1)
	s_xor_b32 s20, exec_lo, s9
	s_cbranch_execz .LBB0_259
; %bb.242:                              ;   in Loop: Header=BB0_129 Depth=3
	v_dual_mov_b32 v47, 0 :: v_dual_mov_b32 v46, 0
	s_and_saveexec_b32 s21, vcc_lo
	s_cbranch_execz .LBB0_250
; %bb.243:                              ;   in Loop: Header=BB0_129 Depth=3
	v_bfrev_b32_e32 v46, 1
	s_mov_b32 s22, exec_lo
	v_cmpx_ne_u16_e32 0x80, v45
	s_cbranch_execz .LBB0_249
; %bb.244:                              ;   in Loop: Header=BB0_129 Depth=3
	v_bfe_u32 v73, v16, 16, 7
	v_mov_b32_e32 v46, 0x7f800001
	s_mov_b32 s23, exec_lo
	s_delay_alu instid0(VALU_DEP_2)
	v_cmpx_ne_u32_e32 0x7f, v73
	s_cbranch_execz .LBB0_248
; %bb.245:                              ;   in Loop: Header=BB0_129 Depth=3
	v_dual_mov_b32 v45, v55 :: v_dual_bitop2_b32 v44, 7, v17 bitop3:0x40
	v_lshrrev_b32_e32 v46, 3, v73
	s_mov_b32 s24, exec_lo
	v_cmpx_gt_u32_e32 8, v73
; %bb.246:                              ;   in Loop: Header=BB0_129 Depth=3
	s_delay_alu instid0(VALU_DEP_3) | instskip(NEXT) | instid1(VALU_DEP_1)
	v_clz_i32_u32_e32 v46, v44
	v_min_u32_e32 v46, 32, v46
	s_delay_alu instid0(VALU_DEP_1) | instskip(NEXT) | instid1(VALU_DEP_1)
	v_subrev_nc_u32_e32 v73, 28, v46
	v_lshlrev_b64_e32 v[44:45], v73, v[44:45]
	s_delay_alu instid0(VALU_DEP_1)
	v_dual_sub_nc_u32 v46, 29, v46 :: v_dual_bitop2_b32 v44, 7, v44 bitop3:0x40
; %bb.247:                              ;   in Loop: Header=BB0_129 Depth=3
	s_or_b32 exec_lo, exec_lo, s24
	s_delay_alu instid0(VALU_DEP_1) | instskip(NEXT) | instid1(VALU_DEP_2)
	v_dual_lshlrev_b32 v17, 24, v17 :: v_dual_lshlrev_b32 v44, 20, v44
	v_lshl_add_u32 v45, v46, 23, 0x3c000000
	s_delay_alu instid0(VALU_DEP_2) | instskip(NEXT) | instid1(VALU_DEP_1)
	v_and_b32_e32 v17, 0x80000000, v17
	v_or3_b32 v46, v44, v17, v45
.LBB0_248:                              ;   in Loop: Header=BB0_129 Depth=3
	s_or_b32 exec_lo, exec_lo, s23
.LBB0_249:                              ;   in Loop: Header=BB0_129 Depth=3
	s_delay_alu instid0(SALU_CYCLE_1)
	s_or_b32 exec_lo, exec_lo, s22
.LBB0_250:                              ;   in Loop: Header=BB0_129 Depth=3
	s_delay_alu instid0(SALU_CYCLE_1) | instskip(SKIP_2) | instid1(VALU_DEP_1)
	s_or_b32 exec_lo, exec_lo, s21
	v_and_b32_e32 v17, 0xff, v5
	s_mov_b32 s21, exec_lo
	v_cmpx_ne_u16_e32 0, v17
	s_cbranch_execz .LBB0_258
; %bb.251:                              ;   in Loop: Header=BB0_129 Depth=3
	v_bfrev_b32_e32 v47, 1
	s_mov_b32 s22, exec_lo
	v_cmpx_ne_u16_e32 0x80, v17
	s_cbranch_execz .LBB0_257
; %bb.252:                              ;   in Loop: Header=BB0_129 Depth=3
	v_bfe_u32 v73, v4, 16, 7
	v_mov_b32_e32 v47, 0x7f800001
	s_mov_b32 s23, exec_lo
	s_delay_alu instid0(VALU_DEP_2)
	v_cmpx_ne_u32_e32 0x7f, v73
	s_cbranch_execz .LBB0_256
; %bb.253:                              ;   in Loop: Header=BB0_129 Depth=3
	v_dual_mov_b32 v45, v55 :: v_dual_bitop2_b32 v44, 7, v5 bitop3:0x40
	v_lshrrev_b32_e32 v17, 3, v73
	s_mov_b32 s24, exec_lo
	v_cmpx_gt_u32_e32 8, v73
; %bb.254:                              ;   in Loop: Header=BB0_129 Depth=3
	s_delay_alu instid0(VALU_DEP_3) | instskip(NEXT) | instid1(VALU_DEP_1)
	v_clz_i32_u32_e32 v17, v44
	v_min_u32_e32 v17, 32, v17
	s_delay_alu instid0(VALU_DEP_1) | instskip(NEXT) | instid1(VALU_DEP_1)
	v_subrev_nc_u32_e32 v47, 28, v17
	v_lshlrev_b64_e32 v[44:45], v47, v[44:45]
	s_delay_alu instid0(VALU_DEP_1)
	v_dual_sub_nc_u32 v17, 29, v17 :: v_dual_bitop2_b32 v44, 7, v44 bitop3:0x40
; %bb.255:                              ;   in Loop: Header=BB0_129 Depth=3
	s_or_b32 exec_lo, exec_lo, s24
	s_delay_alu instid0(VALU_DEP_1) | instskip(NEXT) | instid1(VALU_DEP_2)
	v_dual_lshlrev_b32 v5, 24, v5 :: v_dual_lshlrev_b32 v44, 20, v44
	v_lshl_add_u32 v17, v17, 23, 0x3c000000
	s_delay_alu instid0(VALU_DEP_2) | instskip(NEXT) | instid1(VALU_DEP_1)
	v_and_b32_e32 v5, 0x80000000, v5
	v_or3_b32 v47, v44, v5, v17
.LBB0_256:                              ;   in Loop: Header=BB0_129 Depth=3
	s_or_b32 exec_lo, exec_lo, s23
.LBB0_257:                              ;   in Loop: Header=BB0_129 Depth=3
	s_delay_alu instid0(SALU_CYCLE_1)
	s_or_b32 exec_lo, exec_lo, s22
.LBB0_258:                              ;   in Loop: Header=BB0_129 Depth=3
	s_delay_alu instid0(SALU_CYCLE_1) | instskip(NEXT) | instid1(VALU_DEP_1)
	s_or_b32 exec_lo, exec_lo, s21
	v_dual_max_num_f32 v5, v47, v47 :: v_dual_max_num_f32 v17, v46, v46
                                        ; implicit-def: $vgpr45
	s_delay_alu instid0(VALU_DEP_1)
	v_max_num_f32_e32 v44, v17, v5
                                        ; implicit-def: $vgpr5
                                        ; implicit-def: $vgpr17
.LBB0_259:                              ;   in Loop: Header=BB0_129 Depth=3
	s_and_not1_saveexec_b32 s9, s20
	s_cbranch_execz .LBB0_277
; %bb.260:                              ;   in Loop: Header=BB0_129 Depth=3
	v_dual_mov_b32 v47, 0 :: v_dual_mov_b32 v46, 0
	s_and_saveexec_b32 s20, vcc_lo
	s_cbranch_execz .LBB0_268
; %bb.261:                              ;   in Loop: Header=BB0_129 Depth=3
	v_bfrev_b32_e32 v46, 1
	s_mov_b32 s21, exec_lo
	v_cmpx_ne_u16_e32 0x80, v45
	s_cbranch_execz .LBB0_267
; %bb.262:                              ;   in Loop: Header=BB0_129 Depth=3
	v_bfe_u32 v73, v16, 16, 7
	v_mov_b32_e32 v46, 0x7f800001
	s_mov_b32 s22, exec_lo
	s_delay_alu instid0(VALU_DEP_2)
	v_cmpx_ne_u32_e32 0x7f, v73
	s_cbranch_execz .LBB0_266
; %bb.263:                              ;   in Loop: Header=BB0_129 Depth=3
	v_dual_mov_b32 v45, v55 :: v_dual_bitop2_b32 v44, 7, v17 bitop3:0x40
	v_lshrrev_b32_e32 v46, 3, v73
	s_mov_b32 s23, exec_lo
	v_cmpx_gt_u32_e32 8, v73
; %bb.264:                              ;   in Loop: Header=BB0_129 Depth=3
	s_delay_alu instid0(VALU_DEP_3) | instskip(NEXT) | instid1(VALU_DEP_1)
	v_clz_i32_u32_e32 v46, v44
	v_min_u32_e32 v46, 32, v46
	s_delay_alu instid0(VALU_DEP_1) | instskip(NEXT) | instid1(VALU_DEP_1)
	v_subrev_nc_u32_e32 v73, 28, v46
	v_lshlrev_b64_e32 v[44:45], v73, v[44:45]
	s_delay_alu instid0(VALU_DEP_1)
	v_dual_sub_nc_u32 v46, 29, v46 :: v_dual_bitop2_b32 v44, 7, v44 bitop3:0x40
; %bb.265:                              ;   in Loop: Header=BB0_129 Depth=3
	s_or_b32 exec_lo, exec_lo, s23
	s_delay_alu instid0(VALU_DEP_1) | instskip(NEXT) | instid1(VALU_DEP_2)
	v_dual_lshlrev_b32 v17, 24, v17 :: v_dual_lshlrev_b32 v44, 20, v44
	v_lshl_add_u32 v45, v46, 23, 0x3c000000
	s_delay_alu instid0(VALU_DEP_2) | instskip(NEXT) | instid1(VALU_DEP_1)
	v_and_b32_e32 v17, 0x80000000, v17
	v_or3_b32 v46, v44, v17, v45
.LBB0_266:                              ;   in Loop: Header=BB0_129 Depth=3
	s_or_b32 exec_lo, exec_lo, s22
.LBB0_267:                              ;   in Loop: Header=BB0_129 Depth=3
	s_delay_alu instid0(SALU_CYCLE_1)
	s_or_b32 exec_lo, exec_lo, s21
.LBB0_268:                              ;   in Loop: Header=BB0_129 Depth=3
	s_delay_alu instid0(SALU_CYCLE_1) | instskip(SKIP_2) | instid1(VALU_DEP_1)
	s_or_b32 exec_lo, exec_lo, s20
	v_and_b32_e32 v17, 0xff, v5
	s_mov_b32 s20, exec_lo
	v_cmpx_ne_u16_e32 0, v17
	s_cbranch_execz .LBB0_276
; %bb.269:                              ;   in Loop: Header=BB0_129 Depth=3
	v_bfrev_b32_e32 v47, 1
	s_mov_b32 s21, exec_lo
	v_cmpx_ne_u16_e32 0x80, v17
	s_cbranch_execz .LBB0_275
; %bb.270:                              ;   in Loop: Header=BB0_129 Depth=3
	v_bfe_u32 v73, v4, 16, 7
	v_mov_b32_e32 v47, 0x7f800001
	s_mov_b32 s22, exec_lo
	s_delay_alu instid0(VALU_DEP_2)
	v_cmpx_ne_u32_e32 0x7f, v73
	s_cbranch_execz .LBB0_274
; %bb.271:                              ;   in Loop: Header=BB0_129 Depth=3
	v_dual_mov_b32 v45, v55 :: v_dual_bitop2_b32 v44, 7, v5 bitop3:0x40
	v_lshrrev_b32_e32 v17, 3, v73
	s_mov_b32 s23, exec_lo
	v_cmpx_gt_u32_e32 8, v73
; %bb.272:                              ;   in Loop: Header=BB0_129 Depth=3
	s_delay_alu instid0(VALU_DEP_3) | instskip(NEXT) | instid1(VALU_DEP_1)
	v_clz_i32_u32_e32 v17, v44
	v_min_u32_e32 v17, 32, v17
	s_delay_alu instid0(VALU_DEP_1) | instskip(NEXT) | instid1(VALU_DEP_1)
	v_subrev_nc_u32_e32 v47, 28, v17
	v_lshlrev_b64_e32 v[44:45], v47, v[44:45]
	s_delay_alu instid0(VALU_DEP_1)
	v_dual_sub_nc_u32 v17, 29, v17 :: v_dual_bitop2_b32 v44, 7, v44 bitop3:0x40
; %bb.273:                              ;   in Loop: Header=BB0_129 Depth=3
	s_or_b32 exec_lo, exec_lo, s23
	s_delay_alu instid0(VALU_DEP_1) | instskip(NEXT) | instid1(VALU_DEP_2)
	v_dual_lshlrev_b32 v5, 24, v5 :: v_dual_lshlrev_b32 v44, 20, v44
	v_lshl_add_u32 v17, v17, 23, 0x3c000000
	s_delay_alu instid0(VALU_DEP_2) | instskip(NEXT) | instid1(VALU_DEP_1)
	v_and_b32_e32 v5, 0x80000000, v5
	v_or3_b32 v47, v44, v5, v17
.LBB0_274:                              ;   in Loop: Header=BB0_129 Depth=3
	s_or_b32 exec_lo, exec_lo, s22
.LBB0_275:                              ;   in Loop: Header=BB0_129 Depth=3
	s_delay_alu instid0(SALU_CYCLE_1)
	s_or_b32 exec_lo, exec_lo, s21
.LBB0_276:                              ;   in Loop: Header=BB0_129 Depth=3
	s_delay_alu instid0(SALU_CYCLE_1) | instskip(NEXT) | instid1(VALU_DEP_1)
	s_or_b32 exec_lo, exec_lo, s20
	v_dual_max_num_f32 v5, v47, v47 :: v_dual_max_num_f32 v17, v46, v46
	s_delay_alu instid0(VALU_DEP_1)
	v_min_num_f32_e32 v44, v17, v5
.LBB0_277:                              ;   in Loop: Header=BB0_129 Depth=3
	s_or_b32 exec_lo, exec_lo, s9
	s_delay_alu instid0(VALU_DEP_1) | instskip(SKIP_1) | instid1(VALU_DEP_1)
	v_and_b32_e32 v46, 0x7f800000, v44
	v_dual_mov_b32 v47, v55 :: v_dual_lshrrev_b32 v5, 24, v44
	v_cmp_ne_u64_e32 vcc_lo, 0x7f800000, v[46:47]
                                        ; implicit-def: $vgpr46
	s_and_saveexec_b32 s9, vcc_lo
	s_delay_alu instid0(SALU_CYCLE_1)
	s_xor_b32 s20, exec_lo, s9
	s_cbranch_execz .LBB0_291
; %bb.278:                              ;   in Loop: Header=BB0_129 Depth=3
	v_and_b32_e32 v46, 0x7fffffff, v44
	v_mov_b32_e32 v47, v55
	v_and_b32_e32 v5, 0x80, v5
	s_delay_alu instid0(VALU_DEP_2) | instskip(SKIP_1) | instid1(SALU_CYCLE_1)
	v_cmp_gt_u64_e32 vcc_lo, 0x43e00001, v[46:47]
                                        ; implicit-def: $vgpr46
	s_and_saveexec_b32 s9, vcc_lo
	s_xor_b32 s21, exec_lo, s9
	s_cbranch_execz .LBB0_288
; %bb.279:                              ;   in Loop: Header=BB0_129 Depth=3
	v_mov_b32_e32 v46, 0
	s_mov_b32 s22, exec_lo
	v_cmpx_ne_u32_e32 0, v44
	s_cbranch_execz .LBB0_287
; %bb.280:                              ;   in Loop: Header=BB0_129 Depth=3
	v_bfe_u32 v17, v44, 23, 8
	v_and_b32_e32 v46, 0x7fffff, v44
	s_mov_b32 s23, exec_lo
	s_delay_alu instid0(VALU_DEP_2) | instskip(NEXT) | instid1(VALU_DEP_2)
	v_cmp_gt_u32_e32 vcc_lo, 0x7a, v17
	v_or_b32_e32 v47, 0x800000, v46
	v_sub_nc_u32_e32 v45, 0x79, v17
	s_delay_alu instid0(VALU_DEP_1) | instskip(SKIP_1) | instid1(VALU_DEP_4)
	v_cndmask_b32_e32 v45, 0, v45, vcc_lo
	v_cmp_eq_u32_e32 vcc_lo, 0, v17
	v_cndmask_b32_e32 v46, v47, v46, vcc_lo
	v_mov_b32_e32 v47, v55
	s_delay_alu instid0(VALU_DEP_4) | instskip(NEXT) | instid1(VALU_DEP_1)
	v_cndmask_b32_e64 v73, v45, 0x78, vcc_lo
	v_dual_add_nc_u32 v44, 20, v73 :: v_dual_add_nc_u32 v74, 19, v73
	s_delay_alu instid0(VALU_DEP_1) | instskip(NEXT) | instid1(VALU_DEP_2)
	v_lshlrev_b64_e64 v[44:45], v44, -1
	v_lshlrev_b64_e64 v[74:75], v74, 1
	s_delay_alu instid0(VALU_DEP_2) | instskip(NEXT) | instid1(VALU_DEP_3)
	v_bfi_b32 v77, v45, 0, 0
	v_bfi_b32 v76, v44, 0, v46
	v_lshrrev_b64 v[44:45], v73, v[46:47]
	s_delay_alu instid0(VALU_DEP_1) | instskip(NEXT) | instid1(VALU_DEP_3)
	v_mov_b64_e32 v[46:47], v[44:45]
	v_cmpx_eq_u64_e64 v[76:77], v[74:75]
; %bb.281:                              ;   in Loop: Header=BB0_129 Depth=3
	v_bfe_u32 v46, v44, 20, 1
	v_mov_b32_e32 v47, v55
	s_delay_alu instid0(VALU_DEP_1) | instskip(NEXT) | instid1(VALU_DEP_1)
	v_add_nc_u64_e32 v[46:47], v[44:45], v[46:47]
	v_add_nc_u64_e32 v[46:47], -1, v[46:47]
; %bb.282:                              ;   in Loop: Header=BB0_129 Depth=3
	s_or_b32 exec_lo, exec_lo, s23
	v_add_nc_u32_e32 v17, 0xffffff81, v17
	v_lshrrev_b32_e32 v45, 23, v44
	s_mov_b32 s9, exec_lo
	s_delay_alu instid0(VALU_DEP_2) | instskip(NEXT) | instid1(VALU_DEP_1)
	v_cndmask_b32_e64 v17, v17, 0xffffff82, vcc_lo
	v_add3_u32 v47, v73, v17, v45
	v_and_b32_e32 v17, 0xfffff, v46
	s_delay_alu instid0(VALU_DEP_2) | instskip(NEXT) | instid1(VALU_DEP_2)
	v_dual_mov_b32 v45, v55 :: v_dual_add_nc_u32 v46, 6, v47
	v_add_nc_u32_e32 v44, v17, v44
                                        ; implicit-def: $vgpr17
	s_delay_alu instid0(VALU_DEP_2)
	v_cmpx_ne_u32_e32 0, v46
	s_xor_b32 s9, exec_lo, s9
; %bb.283:                              ;   in Loop: Header=BB0_129 Depth=3
	s_delay_alu instid0(VALU_DEP_2) | instskip(SKIP_1) | instid1(VALU_DEP_1)
	v_cmp_lt_u64_e32 vcc_lo, 0xffffff, v[44:45]
	v_add_nc_u32_e32 v17, 7, v47
	v_cndmask_b32_e32 v17, v46, v17, vcc_lo
	v_cndmask_b32_e64 v46, 0, 1, vcc_lo
	s_delay_alu instid0(VALU_DEP_1)
	v_lshrrev_b64 v[44:45], v46, v[44:45]
; %bb.284:                              ;   in Loop: Header=BB0_129 Depth=3
	s_and_not1_saveexec_b32 s9, s9
; %bb.285:                              ;   in Loop: Header=BB0_129 Depth=3
	s_delay_alu instid0(VALU_DEP_1)
	v_bfe_u32 v17, v44, 23, 1
; %bb.286:                              ;   in Loop: Header=BB0_129 Depth=3
	s_or_b32 exec_lo, exec_lo, s9
	s_delay_alu instid0(VALU_DEP_2) | instskip(NEXT) | instid1(VALU_DEP_2)
	v_lshrrev_b64 v[44:45], 20, v[44:45]
	v_cmp_gt_i32_e32 vcc_lo, 16, v17
	v_min_i32_e32 v46, 15, v17
	v_cmp_eq_u32_e64 s9, 0, v17
	s_delay_alu instid0(VALU_DEP_2) | instskip(SKIP_1) | instid1(VALU_DEP_2)
	v_dual_cndmask_b32 v44, 7, v44, vcc_lo :: v_dual_lshlrev_b32 v46, 3, v46
	v_cndmask_b32_e32 v45, 0, v45, vcc_lo
	v_and_b32_e32 v46, 0xf8, v46
	s_delay_alu instid0(VALU_DEP_2) | instskip(NEXT) | instid1(VALU_DEP_2)
	v_cmp_eq_u64_e32 vcc_lo, 0, v[44:45]
	v_and_or_b32 v17, v44, 7, v46
	s_and_b32 s9, s9, vcc_lo
	s_delay_alu instid0(VALU_DEP_1) | instid1(SALU_CYCLE_1)
	v_cndmask_b32_e64 v17, v17, 0, s9
	s_delay_alu instid0(VALU_DEP_1)
	v_or_b32_e32 v46, v17, v5
.LBB0_287:                              ;   in Loop: Header=BB0_129 Depth=3
	s_or_b32 exec_lo, exec_lo, s22
                                        ; implicit-def: $vgpr5
.LBB0_288:                              ;   in Loop: Header=BB0_129 Depth=3
	s_and_not1_saveexec_b32 s9, s21
; %bb.289:                              ;   in Loop: Header=BB0_129 Depth=3
	v_or_b32_e32 v46, 0x7e, v5
; %bb.290:                              ;   in Loop: Header=BB0_129 Depth=3
	s_or_b32 exec_lo, exec_lo, s9
                                        ; implicit-def: $vgpr5
.LBB0_291:                              ;   in Loop: Header=BB0_129 Depth=3
	s_and_not1_saveexec_b32 s9, s20
; %bb.292:                              ;   in Loop: Header=BB0_129 Depth=3
	v_or_b32_e32 v46, 0x7f, v5
; %bb.293:                              ;   in Loop: Header=BB0_129 Depth=3
	s_or_b32 exec_lo, exec_lo, s9
	v_lshrrev_b32_e32 v5, 24, v16
	v_lshrrev_b32_e32 v44, 24, v4
	v_cmp_lt_u32_e32 vcc_lo, 0xffffff, v16
                                        ; implicit-def: $vgpr17
	s_and_saveexec_b32 s9, s6
	s_delay_alu instid0(SALU_CYCLE_1)
	s_xor_b32 s20, exec_lo, s9
	s_cbranch_execz .LBB0_311
; %bb.294:                              ;   in Loop: Header=BB0_129 Depth=3
	v_dual_mov_b32 v45, 0 :: v_dual_mov_b32 v17, 0
	s_and_saveexec_b32 s21, vcc_lo
	s_cbranch_execz .LBB0_302
; %bb.295:                              ;   in Loop: Header=BB0_129 Depth=3
	v_bfrev_b32_e32 v17, 1
	s_mov_b32 s22, exec_lo
	v_cmpx_ne_u32_e32 0x80, v5
	s_cbranch_execz .LBB0_301
; %bb.296:                              ;   in Loop: Header=BB0_129 Depth=3
	v_bfe_u32 v73, v16, 24, 7
	v_mov_b32_e32 v17, 0x7f800001
	s_mov_b32 s23, exec_lo
	s_delay_alu instid0(VALU_DEP_2)
	v_cmpx_ne_u32_e32 0x7f, v73
	s_cbranch_execz .LBB0_300
; %bb.297:                              ;   in Loop: Header=BB0_129 Depth=3
	v_dual_mov_b32 v17, v55 :: v_dual_bitop2_b32 v16, 7, v5 bitop3:0x40
	v_lshrrev_b32_e32 v47, 3, v73
	s_mov_b32 s24, exec_lo
	v_cmpx_gt_u32_e32 8, v73
; %bb.298:                              ;   in Loop: Header=BB0_129 Depth=3
	s_delay_alu instid0(VALU_DEP_3) | instskip(NEXT) | instid1(VALU_DEP_1)
	v_clz_i32_u32_e32 v47, v16
	v_min_u32_e32 v47, 32, v47
	s_delay_alu instid0(VALU_DEP_1) | instskip(NEXT) | instid1(VALU_DEP_1)
	v_subrev_nc_u32_e32 v73, 28, v47
	v_lshlrev_b64_e32 v[16:17], v73, v[16:17]
	s_delay_alu instid0(VALU_DEP_1)
	v_dual_sub_nc_u32 v47, 29, v47 :: v_dual_bitop2_b32 v16, 7, v16 bitop3:0x40
; %bb.299:                              ;   in Loop: Header=BB0_129 Depth=3
	s_or_b32 exec_lo, exec_lo, s24
	s_delay_alu instid0(VALU_DEP_1) | instskip(NEXT) | instid1(VALU_DEP_2)
	v_dual_lshlrev_b32 v5, 24, v5 :: v_dual_lshlrev_b32 v16, 20, v16
	v_lshl_add_u32 v17, v47, 23, 0x3c000000
	s_delay_alu instid0(VALU_DEP_2) | instskip(NEXT) | instid1(VALU_DEP_1)
	v_and_b32_e32 v5, 0x80000000, v5
	v_or3_b32 v17, v16, v5, v17
.LBB0_300:                              ;   in Loop: Header=BB0_129 Depth=3
	s_or_b32 exec_lo, exec_lo, s23
.LBB0_301:                              ;   in Loop: Header=BB0_129 Depth=3
	s_delay_alu instid0(SALU_CYCLE_1)
	s_or_b32 exec_lo, exec_lo, s22
.LBB0_302:                              ;   in Loop: Header=BB0_129 Depth=3
	s_delay_alu instid0(SALU_CYCLE_1) | instskip(NEXT) | instid1(SALU_CYCLE_1)
	s_or_b32 exec_lo, exec_lo, s21
	s_mov_b32 s21, exec_lo
	v_cmpx_lt_u32_e32 0xffffff, v4
	s_cbranch_execz .LBB0_310
; %bb.303:                              ;   in Loop: Header=BB0_129 Depth=3
	v_bfrev_b32_e32 v45, 1
	s_mov_b32 s22, exec_lo
	v_cmpx_ne_u32_e32 0x80, v44
	s_cbranch_execz .LBB0_309
; %bb.304:                              ;   in Loop: Header=BB0_129 Depth=3
	v_bfe_u32 v47, v4, 24, 7
	v_mov_b32_e32 v45, 0x7f800001
	s_mov_b32 s23, exec_lo
	s_delay_alu instid0(VALU_DEP_2)
	v_cmpx_ne_u32_e32 0x7f, v47
	s_cbranch_execz .LBB0_308
; %bb.305:                              ;   in Loop: Header=BB0_129 Depth=3
	v_dual_mov_b32 v5, v55 :: v_dual_bitop2_b32 v4, 7, v44 bitop3:0x40
	v_lshrrev_b32_e32 v16, 3, v47
	s_mov_b32 s24, exec_lo
	v_cmpx_gt_u32_e32 8, v47
; %bb.306:                              ;   in Loop: Header=BB0_129 Depth=3
	s_delay_alu instid0(VALU_DEP_3) | instskip(NEXT) | instid1(VALU_DEP_1)
	v_clz_i32_u32_e32 v16, v4
	v_min_u32_e32 v16, 32, v16
	s_delay_alu instid0(VALU_DEP_1) | instskip(SKIP_1) | instid1(VALU_DEP_2)
	v_subrev_nc_u32_e32 v45, 28, v16
	v_sub_nc_u32_e32 v16, 29, v16
	v_lshlrev_b64_e32 v[4:5], v45, v[4:5]
	s_delay_alu instid0(VALU_DEP_1)
	v_and_b32_e32 v4, 7, v4
; %bb.307:                              ;   in Loop: Header=BB0_129 Depth=3
	s_or_b32 exec_lo, exec_lo, s24
	v_lshlrev_b32_e32 v5, 24, v44
	s_delay_alu instid0(VALU_DEP_2) | instskip(SKIP_1) | instid1(VALU_DEP_3)
	v_lshlrev_b32_e32 v4, 20, v4
	v_lshl_add_u32 v16, v16, 23, 0x3c000000
	v_and_b32_e32 v5, 0x80000000, v5
	s_delay_alu instid0(VALU_DEP_1)
	v_or3_b32 v45, v4, v5, v16
.LBB0_308:                              ;   in Loop: Header=BB0_129 Depth=3
	s_or_b32 exec_lo, exec_lo, s23
.LBB0_309:                              ;   in Loop: Header=BB0_129 Depth=3
	s_delay_alu instid0(SALU_CYCLE_1)
	s_or_b32 exec_lo, exec_lo, s22
.LBB0_310:                              ;   in Loop: Header=BB0_129 Depth=3
	s_delay_alu instid0(SALU_CYCLE_1) | instskip(NEXT) | instid1(VALU_DEP_1)
	s_or_b32 exec_lo, exec_lo, s21
	v_max_num_f32_e32 v4, v45, v45
	v_max_num_f32_e32 v5, v17, v17
                                        ; implicit-def: $vgpr44
	s_delay_alu instid0(VALU_DEP_1)
	v_max_num_f32_e32 v17, v5, v4
                                        ; implicit-def: $vgpr4_vgpr5
                                        ; implicit-def: $vgpr5
.LBB0_311:                              ;   in Loop: Header=BB0_129 Depth=3
	s_and_not1_saveexec_b32 s9, s20
	s_cbranch_execz .LBB0_329
; %bb.312:                              ;   in Loop: Header=BB0_129 Depth=3
	v_dual_mov_b32 v45, 0 :: v_dual_mov_b32 v17, 0
	s_and_saveexec_b32 s20, vcc_lo
	s_cbranch_execz .LBB0_320
; %bb.313:                              ;   in Loop: Header=BB0_129 Depth=3
	v_bfrev_b32_e32 v17, 1
	s_mov_b32 s21, exec_lo
	v_cmpx_ne_u32_e32 0x80, v5
	s_cbranch_execz .LBB0_319
; %bb.314:                              ;   in Loop: Header=BB0_129 Depth=3
	v_bfe_u32 v73, v16, 24, 7
	v_mov_b32_e32 v17, 0x7f800001
	s_mov_b32 s22, exec_lo
	s_delay_alu instid0(VALU_DEP_2)
	v_cmpx_ne_u32_e32 0x7f, v73
	s_cbranch_execz .LBB0_318
; %bb.315:                              ;   in Loop: Header=BB0_129 Depth=3
	v_dual_mov_b32 v17, v55 :: v_dual_bitop2_b32 v16, 7, v5 bitop3:0x40
	v_lshrrev_b32_e32 v47, 3, v73
	s_mov_b32 s23, exec_lo
	v_cmpx_gt_u32_e32 8, v73
; %bb.316:                              ;   in Loop: Header=BB0_129 Depth=3
	s_delay_alu instid0(VALU_DEP_3) | instskip(NEXT) | instid1(VALU_DEP_1)
	v_clz_i32_u32_e32 v47, v16
	v_min_u32_e32 v47, 32, v47
	s_delay_alu instid0(VALU_DEP_1) | instskip(NEXT) | instid1(VALU_DEP_1)
	v_subrev_nc_u32_e32 v73, 28, v47
	v_lshlrev_b64_e32 v[16:17], v73, v[16:17]
	s_delay_alu instid0(VALU_DEP_1)
	v_dual_sub_nc_u32 v47, 29, v47 :: v_dual_bitop2_b32 v16, 7, v16 bitop3:0x40
; %bb.317:                              ;   in Loop: Header=BB0_129 Depth=3
	s_or_b32 exec_lo, exec_lo, s23
	s_delay_alu instid0(VALU_DEP_1) | instskip(NEXT) | instid1(VALU_DEP_2)
	v_dual_lshlrev_b32 v5, 24, v5 :: v_dual_lshlrev_b32 v16, 20, v16
	v_lshl_add_u32 v17, v47, 23, 0x3c000000
	s_delay_alu instid0(VALU_DEP_2) | instskip(NEXT) | instid1(VALU_DEP_1)
	v_and_b32_e32 v5, 0x80000000, v5
	v_or3_b32 v17, v16, v5, v17
.LBB0_318:                              ;   in Loop: Header=BB0_129 Depth=3
	s_or_b32 exec_lo, exec_lo, s22
.LBB0_319:                              ;   in Loop: Header=BB0_129 Depth=3
	s_delay_alu instid0(SALU_CYCLE_1)
	s_or_b32 exec_lo, exec_lo, s21
.LBB0_320:                              ;   in Loop: Header=BB0_129 Depth=3
	s_delay_alu instid0(SALU_CYCLE_1) | instskip(NEXT) | instid1(SALU_CYCLE_1)
	s_or_b32 exec_lo, exec_lo, s20
	s_mov_b32 s20, exec_lo
	v_cmpx_lt_u32_e32 0xffffff, v4
	s_cbranch_execz .LBB0_328
; %bb.321:                              ;   in Loop: Header=BB0_129 Depth=3
	v_bfrev_b32_e32 v45, 1
	s_mov_b32 s21, exec_lo
	v_cmpx_ne_u32_e32 0x80, v44
	s_cbranch_execz .LBB0_327
; %bb.322:                              ;   in Loop: Header=BB0_129 Depth=3
	v_bfe_u32 v47, v4, 24, 7
	v_mov_b32_e32 v45, 0x7f800001
	s_mov_b32 s22, exec_lo
	s_delay_alu instid0(VALU_DEP_2)
	v_cmpx_ne_u32_e32 0x7f, v47
	s_cbranch_execz .LBB0_326
; %bb.323:                              ;   in Loop: Header=BB0_129 Depth=3
	v_dual_mov_b32 v5, v55 :: v_dual_bitop2_b32 v4, 7, v44 bitop3:0x40
	v_lshrrev_b32_e32 v16, 3, v47
	s_mov_b32 s23, exec_lo
	v_cmpx_gt_u32_e32 8, v47
; %bb.324:                              ;   in Loop: Header=BB0_129 Depth=3
	s_delay_alu instid0(VALU_DEP_3) | instskip(NEXT) | instid1(VALU_DEP_1)
	v_clz_i32_u32_e32 v16, v4
	v_min_u32_e32 v16, 32, v16
	s_delay_alu instid0(VALU_DEP_1) | instskip(SKIP_1) | instid1(VALU_DEP_2)
	v_subrev_nc_u32_e32 v45, 28, v16
	v_sub_nc_u32_e32 v16, 29, v16
	v_lshlrev_b64_e32 v[4:5], v45, v[4:5]
	s_delay_alu instid0(VALU_DEP_1)
	v_and_b32_e32 v4, 7, v4
; %bb.325:                              ;   in Loop: Header=BB0_129 Depth=3
	s_or_b32 exec_lo, exec_lo, s23
	v_lshlrev_b32_e32 v5, 24, v44
	s_delay_alu instid0(VALU_DEP_2) | instskip(SKIP_1) | instid1(VALU_DEP_3)
	v_lshlrev_b32_e32 v4, 20, v4
	v_lshl_add_u32 v16, v16, 23, 0x3c000000
	v_and_b32_e32 v5, 0x80000000, v5
	s_delay_alu instid0(VALU_DEP_1)
	v_or3_b32 v45, v4, v5, v16
.LBB0_326:                              ;   in Loop: Header=BB0_129 Depth=3
	s_or_b32 exec_lo, exec_lo, s22
.LBB0_327:                              ;   in Loop: Header=BB0_129 Depth=3
	s_delay_alu instid0(SALU_CYCLE_1)
	s_or_b32 exec_lo, exec_lo, s21
.LBB0_328:                              ;   in Loop: Header=BB0_129 Depth=3
	s_delay_alu instid0(SALU_CYCLE_1) | instskip(NEXT) | instid1(VALU_DEP_1)
	s_or_b32 exec_lo, exec_lo, s20
	v_max_num_f32_e32 v4, v45, v45
	v_max_num_f32_e32 v5, v17, v17
	s_delay_alu instid0(VALU_DEP_1)
	v_min_num_f32_e32 v17, v5, v4
.LBB0_329:                              ;   in Loop: Header=BB0_129 Depth=3
	s_or_b32 exec_lo, exec_lo, s9
	s_delay_alu instid0(VALU_DEP_1) | instskip(SKIP_1) | instid1(VALU_DEP_1)
	v_and_b32_e32 v4, 0x7f800000, v17
	v_mov_b32_e32 v5, v55
                                        ; implicit-def: $vgpr47
	v_cmp_ne_u64_e32 vcc_lo, 0x7f800000, v[4:5]
	v_lshrrev_b32_e32 v4, 24, v17
	s_and_saveexec_b32 s9, vcc_lo
	s_delay_alu instid0(SALU_CYCLE_1)
	s_xor_b32 s20, exec_lo, s9
	s_cbranch_execz .LBB0_343
; %bb.330:                              ;   in Loop: Header=BB0_129 Depth=3
	v_and_b32_e32 v44, 0x7fffffff, v17
	v_mov_b32_e32 v45, v55
                                        ; implicit-def: $vgpr47
	s_delay_alu instid0(VALU_DEP_1) | instskip(SKIP_2) | instid1(SALU_CYCLE_1)
	v_cmp_gt_u64_e32 vcc_lo, 0x43e00001, v[44:45]
	v_and_b32_e32 v44, 0x80, v4
	s_and_saveexec_b32 s9, vcc_lo
	s_xor_b32 s21, exec_lo, s9
	s_cbranch_execz .LBB0_340
; %bb.331:                              ;   in Loop: Header=BB0_129 Depth=3
	v_mov_b32_e32 v47, 0
	s_mov_b32 s22, exec_lo
	v_cmpx_ne_u32_e32 0, v17
	s_cbranch_execz .LBB0_339
; %bb.332:                              ;   in Loop: Header=BB0_129 Depth=3
	v_bfe_u32 v45, v17, 23, 8
	v_and_b32_e32 v16, 0x7fffff, v17
	s_mov_b32 s23, exec_lo
	s_delay_alu instid0(VALU_DEP_2) | instskip(SKIP_1) | instid1(VALU_DEP_3)
	v_sub_nc_u32_e32 v4, 0x79, v45
	v_cmp_gt_u32_e32 vcc_lo, 0x7a, v45
	v_or_b32_e32 v17, 0x800000, v16
	s_delay_alu instid0(VALU_DEP_3) | instskip(SKIP_1) | instid1(VALU_DEP_2)
	v_cndmask_b32_e32 v4, 0, v4, vcc_lo
	v_cmp_eq_u32_e32 vcc_lo, 0, v45
	v_cndmask_b32_e64 v47, v4, 0x78, vcc_lo
	s_delay_alu instid0(VALU_DEP_4) | instskip(NEXT) | instid1(VALU_DEP_2)
	v_dual_cndmask_b32 v16, v17, v16 :: v_dual_mov_b32 v17, v55
	v_dual_add_nc_u32 v4, 20, v47 :: v_dual_add_nc_u32 v73, 19, v47
	s_delay_alu instid0(VALU_DEP_1) | instskip(NEXT) | instid1(VALU_DEP_2)
	v_lshlrev_b64_e64 v[4:5], v4, -1
	v_lshlrev_b64_e64 v[74:75], v73, 1
	s_delay_alu instid0(VALU_DEP_2) | instskip(NEXT) | instid1(VALU_DEP_3)
	v_bfi_b32 v77, v5, 0, 0
	v_bfi_b32 v76, v4, 0, v16
	v_lshrrev_b64 v[4:5], v47, v[16:17]
	s_delay_alu instid0(VALU_DEP_1) | instskip(NEXT) | instid1(VALU_DEP_3)
	v_mov_b64_e32 v[16:17], v[4:5]
	v_cmpx_eq_u64_e64 v[76:77], v[74:75]
; %bb.333:                              ;   in Loop: Header=BB0_129 Depth=3
	v_bfe_u32 v16, v4, 20, 1
	v_mov_b32_e32 v17, v55
	s_delay_alu instid0(VALU_DEP_1) | instskip(NEXT) | instid1(VALU_DEP_1)
	v_add_nc_u64_e32 v[16:17], v[4:5], v[16:17]
	v_add_nc_u64_e32 v[16:17], -1, v[16:17]
; %bb.334:                              ;   in Loop: Header=BB0_129 Depth=3
	s_or_b32 exec_lo, exec_lo, s23
	v_add_nc_u32_e32 v5, 0xffffff81, v45
	v_lshrrev_b32_e32 v17, 23, v4
	s_mov_b32 s9, exec_lo
	s_delay_alu instid0(VALU_DEP_2) | instskip(NEXT) | instid1(VALU_DEP_1)
	v_cndmask_b32_e64 v5, v5, 0xffffff82, vcc_lo
	v_add3_u32 v17, v47, v5, v17
	v_and_b32_e32 v5, 0xfffff, v16
                                        ; implicit-def: $vgpr16
	s_delay_alu instid0(VALU_DEP_1) | instskip(SKIP_1) | instid1(VALU_DEP_2)
	v_dual_add_nc_u32 v45, 6, v17 :: v_dual_add_nc_u32 v4, v5, v4
	v_mov_b32_e32 v5, v55
	v_cmpx_ne_u32_e32 0, v45
	s_xor_b32 s9, exec_lo, s9
; %bb.335:                              ;   in Loop: Header=BB0_129 Depth=3
	s_delay_alu instid0(VALU_DEP_2) | instskip(SKIP_2) | instid1(VALU_DEP_2)
	v_cmp_lt_u64_e32 vcc_lo, 0xffffff, v[4:5]
	v_add_nc_u32_e32 v16, 7, v17
	v_cndmask_b32_e64 v17, 0, 1, vcc_lo
	v_cndmask_b32_e32 v16, v45, v16, vcc_lo
	s_delay_alu instid0(VALU_DEP_2)
	v_lshrrev_b64 v[4:5], v17, v[4:5]
; %bb.336:                              ;   in Loop: Header=BB0_129 Depth=3
	s_and_not1_saveexec_b32 s9, s9
; %bb.337:                              ;   in Loop: Header=BB0_129 Depth=3
	s_delay_alu instid0(VALU_DEP_1)
	v_bfe_u32 v16, v4, 23, 1
; %bb.338:                              ;   in Loop: Header=BB0_129 Depth=3
	s_or_b32 exec_lo, exec_lo, s9
	s_delay_alu instid0(VALU_DEP_2) | instskip(NEXT) | instid1(VALU_DEP_2)
	v_lshrrev_b64 v[4:5], 20, v[4:5]
	v_cmp_gt_i32_e32 vcc_lo, 16, v16
	v_min_i32_e32 v17, 15, v16
	v_cmp_eq_u32_e64 s9, 0, v16
	s_delay_alu instid0(VALU_DEP_4) | instskip(NEXT) | instid1(VALU_DEP_3)
	v_cndmask_b32_e32 v5, 0, v5, vcc_lo
	v_dual_cndmask_b32 v4, 7, v4 :: v_dual_lshlrev_b32 v17, 3, v17
	s_delay_alu instid0(VALU_DEP_1) | instskip(NEXT) | instid1(VALU_DEP_2)
	v_and_b32_e32 v17, 0xf8, v17
	v_cmp_eq_u64_e32 vcc_lo, 0, v[4:5]
	s_delay_alu instid0(VALU_DEP_2)
	v_and_or_b32 v4, v4, 7, v17
	s_and_b32 s9, s9, vcc_lo
	s_delay_alu instid0(VALU_DEP_1) | instid1(SALU_CYCLE_1)
	v_cndmask_b32_e64 v4, v4, 0, s9
	s_delay_alu instid0(VALU_DEP_1)
	v_or_b32_e32 v47, v4, v44
.LBB0_339:                              ;   in Loop: Header=BB0_129 Depth=3
	s_or_b32 exec_lo, exec_lo, s22
                                        ; implicit-def: $vgpr44
.LBB0_340:                              ;   in Loop: Header=BB0_129 Depth=3
	s_and_not1_saveexec_b32 s9, s21
; %bb.341:                              ;   in Loop: Header=BB0_129 Depth=3
	v_or_b32_e32 v47, 0x7e, v44
; %bb.342:                              ;   in Loop: Header=BB0_129 Depth=3
	s_or_b32 exec_lo, exec_lo, s9
                                        ; implicit-def: $vgpr4
.LBB0_343:                              ;   in Loop: Header=BB0_129 Depth=3
	s_and_not1_saveexec_b32 s9, s20
; %bb.344:                              ;   in Loop: Header=BB0_129 Depth=3
	v_or_b32_e32 v47, 0x7f, v4
; %bb.345:                              ;   in Loop: Header=BB0_129 Depth=3
	s_or_b32 exec_lo, exec_lo, s9
	v_and_b32_e32 v44, 0xff, v18
	v_alignbit_b32 v4, v63, v72, v19
	v_dual_mov_b32 v5, v55 :: v_dual_mov_b32 v19, v55
                                        ; implicit-def: $vgpr16
	s_delay_alu instid0(VALU_DEP_3) | instskip(SKIP_1) | instid1(SALU_CYCLE_1)
	v_cmp_ne_u16_e32 vcc_lo, 0, v44
	s_and_saveexec_b32 s9, s6
	s_xor_b32 s20, exec_lo, s9
	s_cbranch_execz .LBB0_359
; %bb.346:                              ;   in Loop: Header=BB0_129 Depth=3
	v_dual_mov_b32 v17, 0 :: v_dual_mov_b32 v16, 0
	s_and_saveexec_b32 s21, vcc_lo
	s_cbranch_execz .LBB0_352
; %bb.347:                              ;   in Loop: Header=BB0_129 Depth=3
	v_bfrev_b32_e32 v16, 1
	s_mov_b32 s22, exec_lo
	v_cmpx_ne_u16_e32 0x80, v44
	s_cbranch_execz .LBB0_351
; %bb.348:                              ;   in Loop: Header=BB0_129 Depth=3
	v_and_b32_e32 v44, 0x7f, v18
	v_mov_b32_e32 v16, 0x7f800001
	s_mov_b32 s23, exec_lo
	s_delay_alu instid0(VALU_DEP_2)
	v_cmpx_ne_u32_e32 0x7f, v44
	s_cbranch_execz .LBB0_350
; %bb.349:                              ;   in Loop: Header=BB0_129 Depth=3
	v_dual_lshrrev_b32 v45, 3, v44 :: v_dual_bitop2_b32 v16, 7, v18 bitop3:0x40
	v_cmp_gt_u32_e64 s9, 8, v44
	s_delay_alu instid0(VALU_DEP_2) | instskip(NEXT) | instid1(VALU_DEP_1)
	v_clz_i32_u32_e32 v16, v16
	v_min_u32_e32 v16, 32, v16
	s_delay_alu instid0(VALU_DEP_1) | instskip(NEXT) | instid1(VALU_DEP_1)
	v_subrev_nc_u32_e32 v63, 28, v16
	v_dual_sub_nc_u32 v16, 29, v16 :: v_dual_cndmask_b32 v44, 0, v63, s9
	s_delay_alu instid0(VALU_DEP_1) | instskip(NEXT) | instid1(VALU_DEP_2)
	v_cndmask_b32_e64 v16, v45, v16, s9
	v_lshlrev_b64_e32 v[44:45], v44, v[18:19]
	v_lshlrev_b32_e32 v19, 24, v18
	s_delay_alu instid0(VALU_DEP_3) | instskip(NEXT) | instid1(VALU_DEP_2)
	v_lshl_add_u32 v16, v16, 23, 0x3c000000
	v_and_b32_e32 v19, 0x80000000, v19
	s_delay_alu instid0(VALU_DEP_4) | instskip(NEXT) | instid1(VALU_DEP_1)
	v_lshlrev_b32_e32 v44, 20, v44
	v_and_b32_e32 v44, 0x700000, v44
	s_delay_alu instid0(VALU_DEP_1)
	v_or3_b32 v16, v44, v19, v16
.LBB0_350:                              ;   in Loop: Header=BB0_129 Depth=3
	s_or_b32 exec_lo, exec_lo, s23
.LBB0_351:                              ;   in Loop: Header=BB0_129 Depth=3
	s_delay_alu instid0(SALU_CYCLE_1)
	s_or_b32 exec_lo, exec_lo, s22
.LBB0_352:                              ;   in Loop: Header=BB0_129 Depth=3
	s_delay_alu instid0(SALU_CYCLE_1) | instskip(SKIP_2) | instid1(VALU_DEP_1)
	s_or_b32 exec_lo, exec_lo, s21
	v_and_b32_e32 v19, 0xff, v4
	s_mov_b32 s21, exec_lo
	v_cmpx_ne_u16_e32 0, v19
	s_cbranch_execz .LBB0_358
; %bb.353:                              ;   in Loop: Header=BB0_129 Depth=3
	v_bfrev_b32_e32 v17, 1
	s_mov_b32 s22, exec_lo
	v_cmpx_ne_u16_e32 0x80, v19
	s_cbranch_execz .LBB0_357
; %bb.354:                              ;   in Loop: Header=BB0_129 Depth=3
	v_and_b32_e32 v19, 0x7f, v4
	v_mov_b32_e32 v17, 0x7f800001
	s_mov_b32 s23, exec_lo
	s_delay_alu instid0(VALU_DEP_2)
	v_cmpx_ne_u32_e32 0x7f, v19
	s_cbranch_execz .LBB0_356
; %bb.355:                              ;   in Loop: Header=BB0_129 Depth=3
	v_dual_lshrrev_b32 v44, 3, v19 :: v_dual_bitop2_b32 v17, 7, v4 bitop3:0x40
	v_cmp_gt_u32_e64 s9, 8, v19
	s_delay_alu instid0(VALU_DEP_2) | instskip(NEXT) | instid1(VALU_DEP_1)
	v_clz_i32_u32_e32 v17, v17
	v_min_u32_e32 v17, 32, v17
	s_delay_alu instid0(VALU_DEP_1) | instskip(SKIP_1) | instid1(VALU_DEP_2)
	v_subrev_nc_u32_e32 v45, 28, v17
	v_sub_nc_u32_e32 v17, 29, v17
	v_cndmask_b32_e64 v19, 0, v45, s9
	s_delay_alu instid0(VALU_DEP_2) | instskip(NEXT) | instid1(VALU_DEP_2)
	v_cndmask_b32_e64 v17, v44, v17, s9
	v_lshlrev_b64_e32 v[44:45], v19, v[4:5]
	v_lshlrev_b32_e32 v19, 24, v4
	s_delay_alu instid0(VALU_DEP_1) | instskip(NEXT) | instid1(VALU_DEP_3)
	v_and_b32_e32 v19, 0x80000000, v19
	v_lshlrev_b32_e32 v44, 20, v44
	v_lshl_add_u32 v17, v17, 23, 0x3c000000
	s_delay_alu instid0(VALU_DEP_2) | instskip(NEXT) | instid1(VALU_DEP_1)
	v_and_b32_e32 v44, 0x700000, v44
	v_or3_b32 v17, v44, v19, v17
.LBB0_356:                              ;   in Loop: Header=BB0_129 Depth=3
	s_or_b32 exec_lo, exec_lo, s23
.LBB0_357:                              ;   in Loop: Header=BB0_129 Depth=3
	s_delay_alu instid0(SALU_CYCLE_1)
	s_or_b32 exec_lo, exec_lo, s22
.LBB0_358:                              ;   in Loop: Header=BB0_129 Depth=3
	s_delay_alu instid0(SALU_CYCLE_1) | instskip(NEXT) | instid1(VALU_DEP_1)
	s_or_b32 exec_lo, exec_lo, s21
	v_dual_max_num_f32 v17, v17, v17 :: v_dual_max_num_f32 v16, v16, v16
                                        ; implicit-def: $vgpr44
	s_delay_alu instid0(VALU_DEP_1)
	v_max_num_f32_e32 v16, v16, v17
.LBB0_359:                              ;   in Loop: Header=BB0_129 Depth=3
	s_and_not1_saveexec_b32 s9, s20
	s_cbranch_execz .LBB0_373
; %bb.360:                              ;   in Loop: Header=BB0_129 Depth=3
	v_dual_mov_b32 v17, 0 :: v_dual_mov_b32 v16, 0
	s_and_saveexec_b32 s20, vcc_lo
	s_cbranch_execz .LBB0_366
; %bb.361:                              ;   in Loop: Header=BB0_129 Depth=3
	v_bfrev_b32_e32 v16, 1
	s_mov_b32 s21, exec_lo
	v_cmpx_ne_u16_e32 0x80, v44
	s_cbranch_execz .LBB0_365
; %bb.362:                              ;   in Loop: Header=BB0_129 Depth=3
	v_and_b32_e32 v44, 0x7f, v18
	v_mov_b32_e32 v16, 0x7f800001
	s_mov_b32 s22, exec_lo
	s_delay_alu instid0(VALU_DEP_2)
	v_cmpx_ne_u32_e32 0x7f, v44
	s_cbranch_execz .LBB0_364
; %bb.363:                              ;   in Loop: Header=BB0_129 Depth=3
	v_dual_lshrrev_b32 v45, 3, v44 :: v_dual_bitop2_b32 v16, 7, v18 bitop3:0x40
	v_cmp_gt_u32_e32 vcc_lo, 8, v44
	s_delay_alu instid0(VALU_DEP_2) | instskip(NEXT) | instid1(VALU_DEP_1)
	v_clz_i32_u32_e32 v16, v16
	v_min_u32_e32 v16, 32, v16
	s_delay_alu instid0(VALU_DEP_1) | instskip(NEXT) | instid1(VALU_DEP_1)
	v_subrev_nc_u32_e32 v63, 28, v16
	v_dual_sub_nc_u32 v16, 29, v16 :: v_dual_cndmask_b32 v44, 0, v63, vcc_lo
	s_delay_alu instid0(VALU_DEP_1) | instskip(NEXT) | instid1(VALU_DEP_2)
	v_cndmask_b32_e32 v16, v45, v16, vcc_lo
	v_lshlrev_b64_e32 v[44:45], v44, v[18:19]
	v_lshlrev_b32_e32 v19, 24, v18
	s_delay_alu instid0(VALU_DEP_3) | instskip(NEXT) | instid1(VALU_DEP_2)
	v_lshl_add_u32 v16, v16, 23, 0x3c000000
	v_and_b32_e32 v19, 0x80000000, v19
	s_delay_alu instid0(VALU_DEP_4) | instskip(NEXT) | instid1(VALU_DEP_1)
	v_lshlrev_b32_e32 v44, 20, v44
	v_and_b32_e32 v44, 0x700000, v44
	s_delay_alu instid0(VALU_DEP_1)
	v_or3_b32 v16, v44, v19, v16
.LBB0_364:                              ;   in Loop: Header=BB0_129 Depth=3
	s_or_b32 exec_lo, exec_lo, s22
.LBB0_365:                              ;   in Loop: Header=BB0_129 Depth=3
	s_delay_alu instid0(SALU_CYCLE_1)
	s_or_b32 exec_lo, exec_lo, s21
.LBB0_366:                              ;   in Loop: Header=BB0_129 Depth=3
	s_delay_alu instid0(SALU_CYCLE_1) | instskip(SKIP_2) | instid1(VALU_DEP_1)
	s_or_b32 exec_lo, exec_lo, s20
	v_and_b32_e32 v19, 0xff, v4
	s_mov_b32 s20, exec_lo
	v_cmpx_ne_u16_e32 0, v19
	s_cbranch_execz .LBB0_372
; %bb.367:                              ;   in Loop: Header=BB0_129 Depth=3
	v_bfrev_b32_e32 v17, 1
	s_mov_b32 s21, exec_lo
	v_cmpx_ne_u16_e32 0x80, v19
	s_cbranch_execz .LBB0_371
; %bb.368:                              ;   in Loop: Header=BB0_129 Depth=3
	v_and_b32_e32 v19, 0x7f, v4
	v_mov_b32_e32 v17, 0x7f800001
	s_mov_b32 s22, exec_lo
	s_delay_alu instid0(VALU_DEP_2)
	v_cmpx_ne_u32_e32 0x7f, v19
	s_cbranch_execz .LBB0_370
; %bb.369:                              ;   in Loop: Header=BB0_129 Depth=3
	v_dual_lshrrev_b32 v44, 3, v19 :: v_dual_bitop2_b32 v17, 7, v4 bitop3:0x40
	v_cmp_gt_u32_e32 vcc_lo, 8, v19
	s_delay_alu instid0(VALU_DEP_2) | instskip(NEXT) | instid1(VALU_DEP_1)
	v_clz_i32_u32_e32 v17, v17
	v_min_u32_e32 v17, 32, v17
	s_delay_alu instid0(VALU_DEP_1) | instskip(SKIP_1) | instid1(VALU_DEP_2)
	v_subrev_nc_u32_e32 v45, 28, v17
	v_sub_nc_u32_e32 v17, 29, v17
	v_cndmask_b32_e32 v19, 0, v45, vcc_lo
	s_delay_alu instid0(VALU_DEP_2) | instskip(NEXT) | instid1(VALU_DEP_2)
	v_cndmask_b32_e32 v17, v44, v17, vcc_lo
	v_lshlrev_b64_e32 v[44:45], v19, v[4:5]
	v_lshlrev_b32_e32 v5, 24, v4
	s_delay_alu instid0(VALU_DEP_1) | instskip(NEXT) | instid1(VALU_DEP_3)
	v_and_b32_e32 v5, 0x80000000, v5
	v_lshlrev_b32_e32 v19, 20, v44
	v_lshl_add_u32 v17, v17, 23, 0x3c000000
	s_delay_alu instid0(VALU_DEP_2) | instskip(NEXT) | instid1(VALU_DEP_1)
	v_and_b32_e32 v19, 0x700000, v19
	v_or3_b32 v17, v19, v5, v17
.LBB0_370:                              ;   in Loop: Header=BB0_129 Depth=3
	s_or_b32 exec_lo, exec_lo, s22
.LBB0_371:                              ;   in Loop: Header=BB0_129 Depth=3
	s_delay_alu instid0(SALU_CYCLE_1)
	s_or_b32 exec_lo, exec_lo, s21
.LBB0_372:                              ;   in Loop: Header=BB0_129 Depth=3
	s_delay_alu instid0(SALU_CYCLE_1) | instskip(NEXT) | instid1(VALU_DEP_1)
	s_or_b32 exec_lo, exec_lo, s20
	v_dual_max_num_f32 v5, v17, v17 :: v_dual_max_num_f32 v16, v16, v16
	s_delay_alu instid0(VALU_DEP_1)
	v_min_num_f32_e32 v16, v16, v5
.LBB0_373:                              ;   in Loop: Header=BB0_129 Depth=3
	s_or_b32 exec_lo, exec_lo, s9
	s_delay_alu instid0(VALU_DEP_1) | instskip(SKIP_2) | instid1(VALU_DEP_1)
	v_and_b32_e32 v44, 0x7f800000, v16
	v_dual_mov_b32 v45, v55 :: v_dual_lshrrev_b32 v5, 24, v16
                                        ; implicit-def: $vgpr63
	s_mov_b32 s9, exec_lo
	v_cmpx_ne_u64_e32 0x7f800000, v[44:45]
	s_xor_b32 s20, exec_lo, s9
	s_cbranch_execz .LBB0_387
; %bb.374:                              ;   in Loop: Header=BB0_129 Depth=3
	v_and_b32_e32 v44, 0x7fffffff, v16
	v_mov_b32_e32 v45, v55
	v_and_b32_e32 v5, 0x80, v5
                                        ; implicit-def: $vgpr63
	s_mov_b32 s9, exec_lo
	s_delay_alu instid0(VALU_DEP_2)
	v_cmpx_gt_u64_e32 0x43e00001, v[44:45]
	s_xor_b32 s21, exec_lo, s9
	s_cbranch_execz .LBB0_384
; %bb.375:                              ;   in Loop: Header=BB0_129 Depth=3
	v_mov_b32_e32 v63, 0
	s_mov_b32 s22, exec_lo
	v_cmpx_ne_u32_e32 0, v16
	s_cbranch_execz .LBB0_383
; %bb.376:                              ;   in Loop: Header=BB0_129 Depth=3
	v_bfe_u32 v19, v16, 23, 8
	v_and_b32_e32 v44, 0x7fffff, v16
	s_mov_b32 s23, exec_lo
	s_delay_alu instid0(VALU_DEP_2) | instskip(NEXT) | instid1(VALU_DEP_2)
	v_cmp_gt_u32_e32 vcc_lo, 0x7a, v19
	v_or_b32_e32 v45, 0x800000, v44
	v_sub_nc_u32_e32 v17, 0x79, v19
	s_delay_alu instid0(VALU_DEP_1) | instskip(SKIP_1) | instid1(VALU_DEP_2)
	v_cndmask_b32_e32 v17, 0, v17, vcc_lo
	v_cmp_eq_u32_e32 vcc_lo, 0, v19
	v_cndmask_b32_e64 v63, v17, 0x78, vcc_lo
	v_dual_cndmask_b32 v44, v45, v44 :: v_dual_mov_b32 v45, v55
	s_delay_alu instid0(VALU_DEP_2) | instskip(NEXT) | instid1(VALU_DEP_1)
	v_dual_add_nc_u32 v72, 19, v63 :: v_dual_add_nc_u32 v16, 20, v63
	v_lshlrev_b64_e64 v[72:73], v72, 1
	s_delay_alu instid0(VALU_DEP_2) | instskip(NEXT) | instid1(VALU_DEP_1)
	v_lshlrev_b64_e64 v[16:17], v16, -1
	v_bfi_b32 v75, v17, 0, 0
	s_delay_alu instid0(VALU_DEP_2) | instskip(SKIP_1) | instid1(VALU_DEP_1)
	v_bfi_b32 v74, v16, 0, v44
	v_lshrrev_b64 v[16:17], v63, v[44:45]
	v_mov_b64_e32 v[44:45], v[16:17]
	s_delay_alu instid0(VALU_DEP_3)
	v_cmpx_eq_u64_e64 v[74:75], v[72:73]
; %bb.377:                              ;   in Loop: Header=BB0_129 Depth=3
	v_bfe_u32 v44, v16, 20, 1
	v_mov_b32_e32 v45, v55
	s_delay_alu instid0(VALU_DEP_1) | instskip(NEXT) | instid1(VALU_DEP_1)
	v_add_nc_u64_e32 v[44:45], v[16:17], v[44:45]
	v_add_nc_u64_e32 v[44:45], -1, v[44:45]
; %bb.378:                              ;   in Loop: Header=BB0_129 Depth=3
	s_or_b32 exec_lo, exec_lo, s23
	v_add_nc_u32_e32 v17, 0xffffff81, v19
	v_lshrrev_b32_e32 v19, 23, v16
	s_mov_b32 s9, exec_lo
	s_delay_alu instid0(VALU_DEP_2) | instskip(NEXT) | instid1(VALU_DEP_1)
	v_cndmask_b32_e64 v17, v17, 0xffffff82, vcc_lo
	v_add3_u32 v45, v63, v17, v19
	v_and_b32_e32 v17, 0xfffff, v44
                                        ; implicit-def: $vgpr19
	s_delay_alu instid0(VALU_DEP_1) | instskip(SKIP_1) | instid1(VALU_DEP_2)
	v_dual_add_nc_u32 v44, 6, v45 :: v_dual_add_nc_u32 v16, v17, v16
	v_mov_b32_e32 v17, v55
	v_cmpx_ne_u32_e32 0, v44
	s_xor_b32 s9, exec_lo, s9
; %bb.379:                              ;   in Loop: Header=BB0_129 Depth=3
	s_delay_alu instid0(VALU_DEP_2) | instskip(SKIP_1) | instid1(VALU_DEP_1)
	v_cmp_lt_u64_e32 vcc_lo, 0xffffff, v[16:17]
	v_add_nc_u32_e32 v19, 7, v45
	v_cndmask_b32_e32 v19, v44, v19, vcc_lo
	v_cndmask_b32_e64 v44, 0, 1, vcc_lo
	s_delay_alu instid0(VALU_DEP_1)
	v_lshrrev_b64 v[16:17], v44, v[16:17]
; %bb.380:                              ;   in Loop: Header=BB0_129 Depth=3
	s_and_not1_saveexec_b32 s9, s9
; %bb.381:                              ;   in Loop: Header=BB0_129 Depth=3
	s_delay_alu instid0(VALU_DEP_1)
	v_bfe_u32 v19, v16, 23, 1
; %bb.382:                              ;   in Loop: Header=BB0_129 Depth=3
	s_or_b32 exec_lo, exec_lo, s9
	s_delay_alu instid0(VALU_DEP_2) | instskip(NEXT) | instid1(VALU_DEP_2)
	v_lshrrev_b64 v[16:17], 20, v[16:17]
	v_cmp_gt_i32_e32 vcc_lo, 16, v19
	v_min_i32_e32 v44, 15, v19
	v_cmp_eq_u32_e64 s9, 0, v19
	s_delay_alu instid0(VALU_DEP_2) | instskip(SKIP_1) | instid1(VALU_DEP_2)
	v_dual_cndmask_b32 v17, 0, v17 :: v_dual_lshlrev_b32 v44, 3, v44
	v_cndmask_b32_e32 v16, 7, v16, vcc_lo
	v_and_b32_e32 v44, 0xf8, v44
	s_delay_alu instid0(VALU_DEP_2) | instskip(NEXT) | instid1(VALU_DEP_2)
	v_cmp_eq_u64_e32 vcc_lo, 0, v[16:17]
	v_and_or_b32 v16, v16, 7, v44
	s_and_b32 s9, s9, vcc_lo
	s_delay_alu instid0(VALU_DEP_1) | instid1(SALU_CYCLE_1)
	v_cndmask_b32_e64 v16, v16, 0, s9
	s_delay_alu instid0(VALU_DEP_1)
	v_or_b32_e32 v63, v16, v5
.LBB0_383:                              ;   in Loop: Header=BB0_129 Depth=3
	s_or_b32 exec_lo, exec_lo, s22
                                        ; implicit-def: $vgpr5
.LBB0_384:                              ;   in Loop: Header=BB0_129 Depth=3
	s_and_not1_saveexec_b32 s9, s21
; %bb.385:                              ;   in Loop: Header=BB0_129 Depth=3
	v_or_b32_e32 v63, 0x7e, v5
; %bb.386:                              ;   in Loop: Header=BB0_129 Depth=3
	s_or_b32 exec_lo, exec_lo, s9
                                        ; implicit-def: $vgpr5
.LBB0_387:                              ;   in Loop: Header=BB0_129 Depth=3
	s_and_not1_saveexec_b32 s9, s20
; %bb.388:                              ;   in Loop: Header=BB0_129 Depth=3
	v_or_b32_e32 v63, 0x7f, v5
; %bb.389:                              ;   in Loop: Header=BB0_129 Depth=3
	s_or_b32 exec_lo, exec_lo, s9
	v_lshrrev_b16 v17, 8, v18
	v_lshrrev_b16 v5, 8, v4
                                        ; implicit-def: $vgpr16
	s_delay_alu instid0(VALU_DEP_2) | instskip(SKIP_1) | instid1(SALU_CYCLE_1)
	v_cmp_ne_u16_e32 vcc_lo, 0, v17
	s_and_saveexec_b32 s9, s6
	s_xor_b32 s20, exec_lo, s9
	s_cbranch_execz .LBB0_407
; %bb.390:                              ;   in Loop: Header=BB0_129 Depth=3
	v_dual_mov_b32 v44, 0 :: v_dual_mov_b32 v19, 0
	s_and_saveexec_b32 s21, vcc_lo
	s_cbranch_execz .LBB0_398
; %bb.391:                              ;   in Loop: Header=BB0_129 Depth=3
	v_bfrev_b32_e32 v19, 1
	s_mov_b32 s22, exec_lo
	v_cmpx_ne_u16_e32 0x80, v17
	s_cbranch_execz .LBB0_397
; %bb.392:                              ;   in Loop: Header=BB0_129 Depth=3
	v_and_b32_e32 v16, 0xffff, v17
	v_mov_b32_e32 v19, 0x7f800001
	s_mov_b32 s23, exec_lo
	s_delay_alu instid0(VALU_DEP_2) | instskip(NEXT) | instid1(VALU_DEP_1)
	v_and_b32_e32 v45, 0x7f, v16
	v_cmpx_ne_u32_e32 0x7f, v45
	s_cbranch_execz .LBB0_396
; %bb.393:                              ;   in Loop: Header=BB0_129 Depth=3
	v_dual_mov_b32 v17, v55 :: v_dual_bitop2_b32 v16, 7, v16 bitop3:0x40
	v_lshrrev_b32_e32 v19, 3, v45
	s_mov_b32 s24, exec_lo
	v_cmpx_gt_u32_e32 8, v45
; %bb.394:                              ;   in Loop: Header=BB0_129 Depth=3
	s_delay_alu instid0(VALU_DEP_3) | instskip(NEXT) | instid1(VALU_DEP_1)
	v_clz_i32_u32_e32 v19, v16
	v_min_u32_e32 v19, 32, v19
	s_delay_alu instid0(VALU_DEP_1) | instskip(NEXT) | instid1(VALU_DEP_1)
	v_subrev_nc_u32_e32 v45, 28, v19
	v_lshlrev_b64_e32 v[16:17], v45, v[16:17]
	s_delay_alu instid0(VALU_DEP_1)
	v_dual_sub_nc_u32 v19, 29, v19 :: v_dual_bitop2_b32 v16, 7, v16 bitop3:0x40
; %bb.395:                              ;   in Loop: Header=BB0_129 Depth=3
	s_or_b32 exec_lo, exec_lo, s24
	s_delay_alu instid0(VALU_DEP_1) | instskip(NEXT) | instid1(VALU_DEP_2)
	v_dual_lshlrev_b32 v17, 16, v18 :: v_dual_lshlrev_b32 v16, 20, v16
	v_lshl_add_u32 v19, v19, 23, 0x3c000000
	s_delay_alu instid0(VALU_DEP_2) | instskip(NEXT) | instid1(VALU_DEP_1)
	v_and_b32_e32 v17, 0x80000000, v17
	v_or3_b32 v19, v16, v17, v19
.LBB0_396:                              ;   in Loop: Header=BB0_129 Depth=3
	s_or_b32 exec_lo, exec_lo, s23
.LBB0_397:                              ;   in Loop: Header=BB0_129 Depth=3
	s_delay_alu instid0(SALU_CYCLE_1)
	s_or_b32 exec_lo, exec_lo, s22
.LBB0_398:                              ;   in Loop: Header=BB0_129 Depth=3
	s_delay_alu instid0(SALU_CYCLE_1) | instskip(NEXT) | instid1(SALU_CYCLE_1)
	s_or_b32 exec_lo, exec_lo, s21
	s_mov_b32 s21, exec_lo
	v_cmpx_ne_u16_e32 0, v5
	s_cbranch_execz .LBB0_406
; %bb.399:                              ;   in Loop: Header=BB0_129 Depth=3
	v_bfrev_b32_e32 v44, 1
	s_mov_b32 s22, exec_lo
	v_cmpx_ne_u16_e32 0x80, v5
	s_cbranch_execz .LBB0_405
; %bb.400:                              ;   in Loop: Header=BB0_129 Depth=3
	v_and_b32_e32 v5, 0xffff, v5
	v_mov_b32_e32 v44, 0x7f800001
	s_mov_b32 s23, exec_lo
	s_delay_alu instid0(VALU_DEP_2) | instskip(NEXT) | instid1(VALU_DEP_1)
	v_and_b32_e32 v45, 0x7f, v5
	v_cmpx_ne_u32_e32 0x7f, v45
	s_cbranch_execz .LBB0_404
; %bb.401:                              ;   in Loop: Header=BB0_129 Depth=3
	v_dual_mov_b32 v17, v55 :: v_dual_bitop2_b32 v16, 7, v5 bitop3:0x40
	v_lshrrev_b32_e32 v5, 3, v45
	s_mov_b32 s24, exec_lo
	v_cmpx_gt_u32_e32 8, v45
; %bb.402:                              ;   in Loop: Header=BB0_129 Depth=3
	s_delay_alu instid0(VALU_DEP_3) | instskip(NEXT) | instid1(VALU_DEP_1)
	v_clz_i32_u32_e32 v5, v16
	v_min_u32_e32 v5, 32, v5
	s_delay_alu instid0(VALU_DEP_1) | instskip(NEXT) | instid1(VALU_DEP_1)
	v_subrev_nc_u32_e32 v44, 28, v5
	v_lshlrev_b64_e32 v[16:17], v44, v[16:17]
	s_delay_alu instid0(VALU_DEP_1)
	v_dual_sub_nc_u32 v5, 29, v5 :: v_dual_bitop2_b32 v16, 7, v16 bitop3:0x40
; %bb.403:                              ;   in Loop: Header=BB0_129 Depth=3
	s_or_b32 exec_lo, exec_lo, s24
	v_lshlrev_b32_e32 v17, 16, v4
	s_delay_alu instid0(VALU_DEP_2) | instskip(NEXT) | instid1(VALU_DEP_3)
	v_lshlrev_b32_e32 v16, 20, v16
	v_lshl_add_u32 v5, v5, 23, 0x3c000000
	s_delay_alu instid0(VALU_DEP_3) | instskip(NEXT) | instid1(VALU_DEP_1)
	v_and_b32_e32 v17, 0x80000000, v17
	v_or3_b32 v44, v16, v17, v5
.LBB0_404:                              ;   in Loop: Header=BB0_129 Depth=3
	s_or_b32 exec_lo, exec_lo, s23
.LBB0_405:                              ;   in Loop: Header=BB0_129 Depth=3
	s_delay_alu instid0(SALU_CYCLE_1)
	s_or_b32 exec_lo, exec_lo, s22
.LBB0_406:                              ;   in Loop: Header=BB0_129 Depth=3
	s_delay_alu instid0(SALU_CYCLE_1) | instskip(NEXT) | instid1(VALU_DEP_1)
	s_or_b32 exec_lo, exec_lo, s21
	v_dual_max_num_f32 v5, v44, v44 :: v_dual_max_num_f32 v16, v19, v19
                                        ; implicit-def: $vgpr17
	s_delay_alu instid0(VALU_DEP_1)
	v_max_num_f32_e32 v16, v16, v5
                                        ; implicit-def: $vgpr5
.LBB0_407:                              ;   in Loop: Header=BB0_129 Depth=3
	s_and_not1_saveexec_b32 s9, s20
	s_cbranch_execz .LBB0_425
; %bb.408:                              ;   in Loop: Header=BB0_129 Depth=3
	v_dual_mov_b32 v44, 0 :: v_dual_mov_b32 v19, 0
	s_and_saveexec_b32 s20, vcc_lo
	s_cbranch_execz .LBB0_416
; %bb.409:                              ;   in Loop: Header=BB0_129 Depth=3
	v_bfrev_b32_e32 v19, 1
	s_mov_b32 s21, exec_lo
	v_cmpx_ne_u16_e32 0x80, v17
	s_cbranch_execz .LBB0_415
; %bb.410:                              ;   in Loop: Header=BB0_129 Depth=3
	v_and_b32_e32 v16, 0xffff, v17
	v_mov_b32_e32 v19, 0x7f800001
	s_mov_b32 s22, exec_lo
	s_delay_alu instid0(VALU_DEP_2) | instskip(NEXT) | instid1(VALU_DEP_1)
	v_and_b32_e32 v45, 0x7f, v16
	v_cmpx_ne_u32_e32 0x7f, v45
	s_cbranch_execz .LBB0_414
; %bb.411:                              ;   in Loop: Header=BB0_129 Depth=3
	v_dual_mov_b32 v17, v55 :: v_dual_bitop2_b32 v16, 7, v16 bitop3:0x40
	v_lshrrev_b32_e32 v19, 3, v45
	s_mov_b32 s23, exec_lo
	v_cmpx_gt_u32_e32 8, v45
; %bb.412:                              ;   in Loop: Header=BB0_129 Depth=3
	s_delay_alu instid0(VALU_DEP_3) | instskip(NEXT) | instid1(VALU_DEP_1)
	v_clz_i32_u32_e32 v19, v16
	v_min_u32_e32 v19, 32, v19
	s_delay_alu instid0(VALU_DEP_1) | instskip(NEXT) | instid1(VALU_DEP_1)
	v_subrev_nc_u32_e32 v45, 28, v19
	v_lshlrev_b64_e32 v[16:17], v45, v[16:17]
	s_delay_alu instid0(VALU_DEP_1)
	v_dual_sub_nc_u32 v19, 29, v19 :: v_dual_bitop2_b32 v16, 7, v16 bitop3:0x40
; %bb.413:                              ;   in Loop: Header=BB0_129 Depth=3
	s_or_b32 exec_lo, exec_lo, s23
	s_delay_alu instid0(VALU_DEP_1) | instskip(NEXT) | instid1(VALU_DEP_2)
	v_dual_lshlrev_b32 v17, 16, v18 :: v_dual_lshlrev_b32 v16, 20, v16
	v_lshl_add_u32 v19, v19, 23, 0x3c000000
	s_delay_alu instid0(VALU_DEP_2) | instskip(NEXT) | instid1(VALU_DEP_1)
	v_and_b32_e32 v17, 0x80000000, v17
	v_or3_b32 v19, v16, v17, v19
.LBB0_414:                              ;   in Loop: Header=BB0_129 Depth=3
	s_or_b32 exec_lo, exec_lo, s22
.LBB0_415:                              ;   in Loop: Header=BB0_129 Depth=3
	s_delay_alu instid0(SALU_CYCLE_1)
	s_or_b32 exec_lo, exec_lo, s21
.LBB0_416:                              ;   in Loop: Header=BB0_129 Depth=3
	s_delay_alu instid0(SALU_CYCLE_1) | instskip(NEXT) | instid1(SALU_CYCLE_1)
	s_or_b32 exec_lo, exec_lo, s20
	s_mov_b32 s20, exec_lo
	v_cmpx_ne_u16_e32 0, v5
	s_cbranch_execz .LBB0_424
; %bb.417:                              ;   in Loop: Header=BB0_129 Depth=3
	v_bfrev_b32_e32 v44, 1
	s_mov_b32 s21, exec_lo
	v_cmpx_ne_u16_e32 0x80, v5
	s_cbranch_execz .LBB0_423
; %bb.418:                              ;   in Loop: Header=BB0_129 Depth=3
	v_and_b32_e32 v5, 0xffff, v5
	v_mov_b32_e32 v44, 0x7f800001
	s_mov_b32 s22, exec_lo
	s_delay_alu instid0(VALU_DEP_2) | instskip(NEXT) | instid1(VALU_DEP_1)
	v_and_b32_e32 v45, 0x7f, v5
	v_cmpx_ne_u32_e32 0x7f, v45
	s_cbranch_execz .LBB0_422
; %bb.419:                              ;   in Loop: Header=BB0_129 Depth=3
	v_dual_mov_b32 v17, v55 :: v_dual_bitop2_b32 v16, 7, v5 bitop3:0x40
	v_lshrrev_b32_e32 v5, 3, v45
	s_mov_b32 s23, exec_lo
	v_cmpx_gt_u32_e32 8, v45
; %bb.420:                              ;   in Loop: Header=BB0_129 Depth=3
	s_delay_alu instid0(VALU_DEP_3) | instskip(NEXT) | instid1(VALU_DEP_1)
	v_clz_i32_u32_e32 v5, v16
	v_min_u32_e32 v5, 32, v5
	s_delay_alu instid0(VALU_DEP_1) | instskip(NEXT) | instid1(VALU_DEP_1)
	v_subrev_nc_u32_e32 v44, 28, v5
	v_lshlrev_b64_e32 v[16:17], v44, v[16:17]
	s_delay_alu instid0(VALU_DEP_1)
	v_dual_sub_nc_u32 v5, 29, v5 :: v_dual_bitop2_b32 v16, 7, v16 bitop3:0x40
; %bb.421:                              ;   in Loop: Header=BB0_129 Depth=3
	s_or_b32 exec_lo, exec_lo, s23
	v_lshlrev_b32_e32 v17, 16, v4
	s_delay_alu instid0(VALU_DEP_2) | instskip(NEXT) | instid1(VALU_DEP_3)
	v_lshlrev_b32_e32 v16, 20, v16
	v_lshl_add_u32 v5, v5, 23, 0x3c000000
	s_delay_alu instid0(VALU_DEP_3) | instskip(NEXT) | instid1(VALU_DEP_1)
	v_and_b32_e32 v17, 0x80000000, v17
	v_or3_b32 v44, v16, v17, v5
.LBB0_422:                              ;   in Loop: Header=BB0_129 Depth=3
	s_or_b32 exec_lo, exec_lo, s22
.LBB0_423:                              ;   in Loop: Header=BB0_129 Depth=3
	s_delay_alu instid0(SALU_CYCLE_1)
	s_or_b32 exec_lo, exec_lo, s21
.LBB0_424:                              ;   in Loop: Header=BB0_129 Depth=3
	s_delay_alu instid0(SALU_CYCLE_1) | instskip(NEXT) | instid1(VALU_DEP_1)
	s_or_b32 exec_lo, exec_lo, s20
	v_dual_max_num_f32 v5, v44, v44 :: v_dual_max_num_f32 v16, v19, v19
	s_delay_alu instid0(VALU_DEP_1)
	v_min_num_f32_e32 v16, v16, v5
.LBB0_425:                              ;   in Loop: Header=BB0_129 Depth=3
	s_or_b32 exec_lo, exec_lo, s9
	s_delay_alu instid0(VALU_DEP_1) | instskip(SKIP_2) | instid1(VALU_DEP_1)
	v_and_b32_e32 v44, 0x7f800000, v16
	v_dual_mov_b32 v45, v55 :: v_dual_lshrrev_b32 v5, 24, v16
                                        ; implicit-def: $vgpr72
	s_mov_b32 s9, exec_lo
	v_cmpx_ne_u64_e32 0x7f800000, v[44:45]
	s_xor_b32 s20, exec_lo, s9
	s_cbranch_execz .LBB0_439
; %bb.426:                              ;   in Loop: Header=BB0_129 Depth=3
	v_and_b32_e32 v44, 0x7fffffff, v16
	v_mov_b32_e32 v45, v55
	v_and_b32_e32 v5, 0x80, v5
                                        ; implicit-def: $vgpr72
	s_mov_b32 s9, exec_lo
	s_delay_alu instid0(VALU_DEP_2)
	v_cmpx_gt_u64_e32 0x43e00001, v[44:45]
	s_xor_b32 s21, exec_lo, s9
	s_cbranch_execz .LBB0_436
; %bb.427:                              ;   in Loop: Header=BB0_129 Depth=3
	v_mov_b32_e32 v72, 0
	s_mov_b32 s22, exec_lo
	v_cmpx_ne_u32_e32 0, v16
	s_cbranch_execz .LBB0_435
; %bb.428:                              ;   in Loop: Header=BB0_129 Depth=3
	v_bfe_u32 v19, v16, 23, 8
	v_and_b32_e32 v44, 0x7fffff, v16
	s_mov_b32 s23, exec_lo
	s_delay_alu instid0(VALU_DEP_2) | instskip(NEXT) | instid1(VALU_DEP_2)
	v_cmp_gt_u32_e32 vcc_lo, 0x7a, v19
	v_or_b32_e32 v45, 0x800000, v44
	v_sub_nc_u32_e32 v17, 0x79, v19
	s_delay_alu instid0(VALU_DEP_1) | instskip(SKIP_1) | instid1(VALU_DEP_2)
	v_cndmask_b32_e32 v17, 0, v17, vcc_lo
	v_cmp_eq_u32_e32 vcc_lo, 0, v19
	v_cndmask_b32_e64 v72, v17, 0x78, vcc_lo
	v_dual_cndmask_b32 v44, v45, v44 :: v_dual_mov_b32 v45, v55
	s_delay_alu instid0(VALU_DEP_2) | instskip(NEXT) | instid1(VALU_DEP_1)
	v_dual_add_nc_u32 v73, 19, v72 :: v_dual_add_nc_u32 v16, 20, v72
	v_lshlrev_b64_e64 v[74:75], v73, 1
	s_delay_alu instid0(VALU_DEP_2) | instskip(NEXT) | instid1(VALU_DEP_1)
	v_lshlrev_b64_e64 v[16:17], v16, -1
	v_bfi_b32 v77, v17, 0, 0
	s_delay_alu instid0(VALU_DEP_2) | instskip(SKIP_1) | instid1(VALU_DEP_1)
	v_bfi_b32 v76, v16, 0, v44
	v_lshrrev_b64 v[16:17], v72, v[44:45]
	v_mov_b64_e32 v[44:45], v[16:17]
	s_delay_alu instid0(VALU_DEP_3)
	v_cmpx_eq_u64_e64 v[76:77], v[74:75]
; %bb.429:                              ;   in Loop: Header=BB0_129 Depth=3
	v_bfe_u32 v44, v16, 20, 1
	v_mov_b32_e32 v45, v55
	s_delay_alu instid0(VALU_DEP_1) | instskip(NEXT) | instid1(VALU_DEP_1)
	v_add_nc_u64_e32 v[44:45], v[16:17], v[44:45]
	v_add_nc_u64_e32 v[44:45], -1, v[44:45]
; %bb.430:                              ;   in Loop: Header=BB0_129 Depth=3
	s_or_b32 exec_lo, exec_lo, s23
	v_add_nc_u32_e32 v17, 0xffffff81, v19
	v_lshrrev_b32_e32 v19, 23, v16
	s_mov_b32 s9, exec_lo
	s_delay_alu instid0(VALU_DEP_2) | instskip(NEXT) | instid1(VALU_DEP_1)
	v_cndmask_b32_e64 v17, v17, 0xffffff82, vcc_lo
	v_add3_u32 v45, v72, v17, v19
	v_and_b32_e32 v17, 0xfffff, v44
                                        ; implicit-def: $vgpr19
	s_delay_alu instid0(VALU_DEP_1) | instskip(SKIP_1) | instid1(VALU_DEP_2)
	v_dual_add_nc_u32 v44, 6, v45 :: v_dual_add_nc_u32 v16, v17, v16
	v_mov_b32_e32 v17, v55
	v_cmpx_ne_u32_e32 0, v44
	s_xor_b32 s9, exec_lo, s9
; %bb.431:                              ;   in Loop: Header=BB0_129 Depth=3
	s_delay_alu instid0(VALU_DEP_2) | instskip(SKIP_1) | instid1(VALU_DEP_1)
	v_cmp_lt_u64_e32 vcc_lo, 0xffffff, v[16:17]
	v_add_nc_u32_e32 v19, 7, v45
	v_cndmask_b32_e32 v19, v44, v19, vcc_lo
	v_cndmask_b32_e64 v44, 0, 1, vcc_lo
	s_delay_alu instid0(VALU_DEP_1)
	v_lshrrev_b64 v[16:17], v44, v[16:17]
; %bb.432:                              ;   in Loop: Header=BB0_129 Depth=3
	s_and_not1_saveexec_b32 s9, s9
; %bb.433:                              ;   in Loop: Header=BB0_129 Depth=3
	s_delay_alu instid0(VALU_DEP_1)
	v_bfe_u32 v19, v16, 23, 1
; %bb.434:                              ;   in Loop: Header=BB0_129 Depth=3
	s_or_b32 exec_lo, exec_lo, s9
	s_delay_alu instid0(VALU_DEP_2) | instskip(NEXT) | instid1(VALU_DEP_2)
	v_lshrrev_b64 v[16:17], 20, v[16:17]
	v_cmp_gt_i32_e32 vcc_lo, 16, v19
	v_min_i32_e32 v44, 15, v19
	v_cmp_eq_u32_e64 s9, 0, v19
	s_delay_alu instid0(VALU_DEP_2) | instskip(SKIP_1) | instid1(VALU_DEP_2)
	v_dual_cndmask_b32 v17, 0, v17 :: v_dual_lshlrev_b32 v44, 3, v44
	v_cndmask_b32_e32 v16, 7, v16, vcc_lo
	v_and_b32_e32 v44, 0xf8, v44
	s_delay_alu instid0(VALU_DEP_2) | instskip(NEXT) | instid1(VALU_DEP_2)
	v_cmp_eq_u64_e32 vcc_lo, 0, v[16:17]
	v_and_or_b32 v16, v16, 7, v44
	s_and_b32 s9, s9, vcc_lo
	s_delay_alu instid0(VALU_DEP_1) | instid1(SALU_CYCLE_1)
	v_cndmask_b32_e64 v16, v16, 0, s9
	s_delay_alu instid0(VALU_DEP_1)
	v_or_b32_e32 v72, v16, v5
.LBB0_435:                              ;   in Loop: Header=BB0_129 Depth=3
	s_or_b32 exec_lo, exec_lo, s22
                                        ; implicit-def: $vgpr5
.LBB0_436:                              ;   in Loop: Header=BB0_129 Depth=3
	s_and_not1_saveexec_b32 s9, s21
; %bb.437:                              ;   in Loop: Header=BB0_129 Depth=3
	v_or_b32_e32 v72, 0x7e, v5
; %bb.438:                              ;   in Loop: Header=BB0_129 Depth=3
	s_or_b32 exec_lo, exec_lo, s9
                                        ; implicit-def: $vgpr5
.LBB0_439:                              ;   in Loop: Header=BB0_129 Depth=3
	s_and_not1_saveexec_b32 s9, s20
; %bb.440:                              ;   in Loop: Header=BB0_129 Depth=3
	v_or_b32_e32 v72, 0x7f, v5
; %bb.441:                              ;   in Loop: Header=BB0_129 Depth=3
	s_or_b32 exec_lo, exec_lo, s9
	v_dual_lshrrev_b32 v19, 16, v18 :: v_dual_lshrrev_b32 v5, 16, v4
                                        ; implicit-def: $vgpr16
	s_delay_alu instid0(VALU_DEP_1) | instskip(NEXT) | instid1(VALU_DEP_1)
	v_and_b32_e32 v17, 0xff, v19
	v_cmp_ne_u16_e32 vcc_lo, 0, v17
	s_and_saveexec_b32 s9, s6
	s_delay_alu instid0(SALU_CYCLE_1)
	s_xor_b32 s20, exec_lo, s9
	s_cbranch_execz .LBB0_459
; %bb.442:                              ;   in Loop: Header=BB0_129 Depth=3
	v_dual_mov_b32 v45, 0 :: v_dual_mov_b32 v44, 0
	s_and_saveexec_b32 s21, vcc_lo
	s_cbranch_execz .LBB0_450
; %bb.443:                              ;   in Loop: Header=BB0_129 Depth=3
	v_bfrev_b32_e32 v44, 1
	s_mov_b32 s22, exec_lo
	v_cmpx_ne_u16_e32 0x80, v17
	s_cbranch_execz .LBB0_449
; %bb.444:                              ;   in Loop: Header=BB0_129 Depth=3
	v_bfe_u32 v73, v18, 16, 7
	v_mov_b32_e32 v44, 0x7f800001
	s_mov_b32 s23, exec_lo
	s_delay_alu instid0(VALU_DEP_2)
	v_cmpx_ne_u32_e32 0x7f, v73
	s_cbranch_execz .LBB0_448
; %bb.445:                              ;   in Loop: Header=BB0_129 Depth=3
	v_dual_mov_b32 v17, v55 :: v_dual_bitop2_b32 v16, 7, v19 bitop3:0x40
	v_lshrrev_b32_e32 v44, 3, v73
	s_mov_b32 s24, exec_lo
	v_cmpx_gt_u32_e32 8, v73
; %bb.446:                              ;   in Loop: Header=BB0_129 Depth=3
	s_delay_alu instid0(VALU_DEP_3) | instskip(NEXT) | instid1(VALU_DEP_1)
	v_clz_i32_u32_e32 v44, v16
	v_min_u32_e32 v44, 32, v44
	s_delay_alu instid0(VALU_DEP_1) | instskip(SKIP_1) | instid1(VALU_DEP_2)
	v_subrev_nc_u32_e32 v73, 28, v44
	v_sub_nc_u32_e32 v44, 29, v44
	v_lshlrev_b64_e32 v[16:17], v73, v[16:17]
	s_delay_alu instid0(VALU_DEP_1)
	v_and_b32_e32 v16, 7, v16
; %bb.447:                              ;   in Loop: Header=BB0_129 Depth=3
	s_or_b32 exec_lo, exec_lo, s24
	s_delay_alu instid0(VALU_DEP_1) | instskip(SKIP_1) | instid1(VALU_DEP_2)
	v_dual_lshlrev_b32 v17, 24, v19 :: v_dual_lshlrev_b32 v16, 20, v16
	v_lshl_add_u32 v19, v44, 23, 0x3c000000
	v_and_b32_e32 v17, 0x80000000, v17
	s_delay_alu instid0(VALU_DEP_1)
	v_or3_b32 v44, v16, v17, v19
.LBB0_448:                              ;   in Loop: Header=BB0_129 Depth=3
	s_or_b32 exec_lo, exec_lo, s23
.LBB0_449:                              ;   in Loop: Header=BB0_129 Depth=3
	s_delay_alu instid0(SALU_CYCLE_1)
	s_or_b32 exec_lo, exec_lo, s22
.LBB0_450:                              ;   in Loop: Header=BB0_129 Depth=3
	s_delay_alu instid0(SALU_CYCLE_1) | instskip(SKIP_2) | instid1(VALU_DEP_1)
	s_or_b32 exec_lo, exec_lo, s21
	v_and_b32_e32 v16, 0xff, v5
	s_mov_b32 s21, exec_lo
	v_cmpx_ne_u16_e32 0, v16
	s_cbranch_execz .LBB0_458
; %bb.451:                              ;   in Loop: Header=BB0_129 Depth=3
	v_bfrev_b32_e32 v45, 1
	s_mov_b32 s22, exec_lo
	v_cmpx_ne_u16_e32 0x80, v16
	s_cbranch_execz .LBB0_457
; %bb.452:                              ;   in Loop: Header=BB0_129 Depth=3
	v_bfe_u32 v73, v4, 16, 7
	v_mov_b32_e32 v45, 0x7f800001
	s_mov_b32 s23, exec_lo
	s_delay_alu instid0(VALU_DEP_2)
	v_cmpx_ne_u32_e32 0x7f, v73
	s_cbranch_execz .LBB0_456
; %bb.453:                              ;   in Loop: Header=BB0_129 Depth=3
	v_dual_mov_b32 v17, v55 :: v_dual_bitop2_b32 v16, 7, v5 bitop3:0x40
	v_lshrrev_b32_e32 v19, 3, v73
	s_mov_b32 s24, exec_lo
	v_cmpx_gt_u32_e32 8, v73
; %bb.454:                              ;   in Loop: Header=BB0_129 Depth=3
	s_delay_alu instid0(VALU_DEP_3) | instskip(NEXT) | instid1(VALU_DEP_1)
	v_clz_i32_u32_e32 v19, v16
	v_min_u32_e32 v19, 32, v19
	s_delay_alu instid0(VALU_DEP_1) | instskip(NEXT) | instid1(VALU_DEP_1)
	v_subrev_nc_u32_e32 v45, 28, v19
	v_lshlrev_b64_e32 v[16:17], v45, v[16:17]
	s_delay_alu instid0(VALU_DEP_1)
	v_dual_sub_nc_u32 v19, 29, v19 :: v_dual_bitop2_b32 v16, 7, v16 bitop3:0x40
; %bb.455:                              ;   in Loop: Header=BB0_129 Depth=3
	s_or_b32 exec_lo, exec_lo, s24
	s_delay_alu instid0(VALU_DEP_1) | instskip(NEXT) | instid1(VALU_DEP_2)
	v_dual_lshlrev_b32 v5, 24, v5 :: v_dual_lshlrev_b32 v16, 20, v16
	v_lshl_add_u32 v17, v19, 23, 0x3c000000
	s_delay_alu instid0(VALU_DEP_2) | instskip(NEXT) | instid1(VALU_DEP_1)
	v_and_b32_e32 v5, 0x80000000, v5
	v_or3_b32 v45, v16, v5, v17
.LBB0_456:                              ;   in Loop: Header=BB0_129 Depth=3
	s_or_b32 exec_lo, exec_lo, s23
.LBB0_457:                              ;   in Loop: Header=BB0_129 Depth=3
	s_delay_alu instid0(SALU_CYCLE_1)
	s_or_b32 exec_lo, exec_lo, s22
.LBB0_458:                              ;   in Loop: Header=BB0_129 Depth=3
	s_delay_alu instid0(SALU_CYCLE_1) | instskip(NEXT) | instid1(VALU_DEP_1)
	s_or_b32 exec_lo, exec_lo, s21
	v_dual_max_num_f32 v5, v45, v45 :: v_dual_max_num_f32 v16, v44, v44
                                        ; implicit-def: $vgpr17
                                        ; implicit-def: $vgpr19
	s_delay_alu instid0(VALU_DEP_1)
	v_max_num_f32_e32 v16, v16, v5
                                        ; implicit-def: $vgpr5
.LBB0_459:                              ;   in Loop: Header=BB0_129 Depth=3
	s_and_not1_saveexec_b32 s9, s20
	s_cbranch_execz .LBB0_477
; %bb.460:                              ;   in Loop: Header=BB0_129 Depth=3
	v_dual_mov_b32 v45, 0 :: v_dual_mov_b32 v44, 0
	s_and_saveexec_b32 s20, vcc_lo
	s_cbranch_execz .LBB0_468
; %bb.461:                              ;   in Loop: Header=BB0_129 Depth=3
	v_bfrev_b32_e32 v44, 1
	s_mov_b32 s21, exec_lo
	v_cmpx_ne_u16_e32 0x80, v17
	s_cbranch_execz .LBB0_467
; %bb.462:                              ;   in Loop: Header=BB0_129 Depth=3
	v_bfe_u32 v73, v18, 16, 7
	v_mov_b32_e32 v44, 0x7f800001
	s_mov_b32 s22, exec_lo
	s_delay_alu instid0(VALU_DEP_2)
	v_cmpx_ne_u32_e32 0x7f, v73
	s_cbranch_execz .LBB0_466
; %bb.463:                              ;   in Loop: Header=BB0_129 Depth=3
	v_dual_mov_b32 v17, v55 :: v_dual_bitop2_b32 v16, 7, v19 bitop3:0x40
	v_lshrrev_b32_e32 v44, 3, v73
	s_mov_b32 s23, exec_lo
	v_cmpx_gt_u32_e32 8, v73
; %bb.464:                              ;   in Loop: Header=BB0_129 Depth=3
	s_delay_alu instid0(VALU_DEP_3) | instskip(NEXT) | instid1(VALU_DEP_1)
	v_clz_i32_u32_e32 v44, v16
	v_min_u32_e32 v44, 32, v44
	s_delay_alu instid0(VALU_DEP_1) | instskip(SKIP_1) | instid1(VALU_DEP_2)
	v_subrev_nc_u32_e32 v73, 28, v44
	v_sub_nc_u32_e32 v44, 29, v44
	v_lshlrev_b64_e32 v[16:17], v73, v[16:17]
	s_delay_alu instid0(VALU_DEP_1)
	v_and_b32_e32 v16, 7, v16
; %bb.465:                              ;   in Loop: Header=BB0_129 Depth=3
	s_or_b32 exec_lo, exec_lo, s23
	s_delay_alu instid0(VALU_DEP_1) | instskip(SKIP_1) | instid1(VALU_DEP_2)
	v_dual_lshlrev_b32 v17, 24, v19 :: v_dual_lshlrev_b32 v16, 20, v16
	v_lshl_add_u32 v19, v44, 23, 0x3c000000
	v_and_b32_e32 v17, 0x80000000, v17
	s_delay_alu instid0(VALU_DEP_1)
	v_or3_b32 v44, v16, v17, v19
.LBB0_466:                              ;   in Loop: Header=BB0_129 Depth=3
	s_or_b32 exec_lo, exec_lo, s22
.LBB0_467:                              ;   in Loop: Header=BB0_129 Depth=3
	s_delay_alu instid0(SALU_CYCLE_1)
	s_or_b32 exec_lo, exec_lo, s21
.LBB0_468:                              ;   in Loop: Header=BB0_129 Depth=3
	s_delay_alu instid0(SALU_CYCLE_1) | instskip(SKIP_2) | instid1(VALU_DEP_1)
	s_or_b32 exec_lo, exec_lo, s20
	v_and_b32_e32 v16, 0xff, v5
	s_mov_b32 s20, exec_lo
	v_cmpx_ne_u16_e32 0, v16
	s_cbranch_execz .LBB0_476
; %bb.469:                              ;   in Loop: Header=BB0_129 Depth=3
	v_bfrev_b32_e32 v45, 1
	s_mov_b32 s21, exec_lo
	v_cmpx_ne_u16_e32 0x80, v16
	s_cbranch_execz .LBB0_475
; %bb.470:                              ;   in Loop: Header=BB0_129 Depth=3
	v_bfe_u32 v73, v4, 16, 7
	v_mov_b32_e32 v45, 0x7f800001
	s_mov_b32 s22, exec_lo
	s_delay_alu instid0(VALU_DEP_2)
	v_cmpx_ne_u32_e32 0x7f, v73
	s_cbranch_execz .LBB0_474
; %bb.471:                              ;   in Loop: Header=BB0_129 Depth=3
	v_dual_mov_b32 v17, v55 :: v_dual_bitop2_b32 v16, 7, v5 bitop3:0x40
	v_lshrrev_b32_e32 v19, 3, v73
	s_mov_b32 s23, exec_lo
	v_cmpx_gt_u32_e32 8, v73
; %bb.472:                              ;   in Loop: Header=BB0_129 Depth=3
	s_delay_alu instid0(VALU_DEP_3) | instskip(NEXT) | instid1(VALU_DEP_1)
	v_clz_i32_u32_e32 v19, v16
	v_min_u32_e32 v19, 32, v19
	s_delay_alu instid0(VALU_DEP_1) | instskip(NEXT) | instid1(VALU_DEP_1)
	v_subrev_nc_u32_e32 v45, 28, v19
	v_lshlrev_b64_e32 v[16:17], v45, v[16:17]
	s_delay_alu instid0(VALU_DEP_1)
	v_dual_sub_nc_u32 v19, 29, v19 :: v_dual_bitop2_b32 v16, 7, v16 bitop3:0x40
; %bb.473:                              ;   in Loop: Header=BB0_129 Depth=3
	s_or_b32 exec_lo, exec_lo, s23
	s_delay_alu instid0(VALU_DEP_1) | instskip(NEXT) | instid1(VALU_DEP_2)
	v_dual_lshlrev_b32 v5, 24, v5 :: v_dual_lshlrev_b32 v16, 20, v16
	v_lshl_add_u32 v17, v19, 23, 0x3c000000
	s_delay_alu instid0(VALU_DEP_2) | instskip(NEXT) | instid1(VALU_DEP_1)
	v_and_b32_e32 v5, 0x80000000, v5
	v_or3_b32 v45, v16, v5, v17
.LBB0_474:                              ;   in Loop: Header=BB0_129 Depth=3
	s_or_b32 exec_lo, exec_lo, s22
.LBB0_475:                              ;   in Loop: Header=BB0_129 Depth=3
	s_delay_alu instid0(SALU_CYCLE_1)
	s_or_b32 exec_lo, exec_lo, s21
.LBB0_476:                              ;   in Loop: Header=BB0_129 Depth=3
	s_delay_alu instid0(SALU_CYCLE_1) | instskip(NEXT) | instid1(VALU_DEP_1)
	s_or_b32 exec_lo, exec_lo, s20
	v_dual_max_num_f32 v5, v45, v45 :: v_dual_max_num_f32 v16, v44, v44
	s_delay_alu instid0(VALU_DEP_1)
	v_min_num_f32_e32 v16, v16, v5
.LBB0_477:                              ;   in Loop: Header=BB0_129 Depth=3
	s_or_b32 exec_lo, exec_lo, s9
	s_delay_alu instid0(VALU_DEP_1) | instskip(SKIP_1) | instid1(VALU_DEP_1)
	v_and_b32_e32 v44, 0x7f800000, v16
	v_dual_mov_b32 v45, v55 :: v_dual_lshrrev_b32 v5, 24, v16
	v_cmp_ne_u64_e32 vcc_lo, 0x7f800000, v[44:45]
                                        ; implicit-def: $vgpr44
	s_and_saveexec_b32 s9, vcc_lo
	s_delay_alu instid0(SALU_CYCLE_1)
	s_xor_b32 s20, exec_lo, s9
	s_cbranch_execz .LBB0_491
; %bb.478:                              ;   in Loop: Header=BB0_129 Depth=3
	v_and_b32_e32 v44, 0x7fffffff, v16
	v_mov_b32_e32 v45, v55
	v_and_b32_e32 v5, 0x80, v5
	s_delay_alu instid0(VALU_DEP_2) | instskip(SKIP_1) | instid1(SALU_CYCLE_1)
	v_cmp_gt_u64_e32 vcc_lo, 0x43e00001, v[44:45]
                                        ; implicit-def: $vgpr44
	s_and_saveexec_b32 s9, vcc_lo
	s_xor_b32 s21, exec_lo, s9
	s_cbranch_execz .LBB0_488
; %bb.479:                              ;   in Loop: Header=BB0_129 Depth=3
	v_mov_b32_e32 v44, 0
	s_mov_b32 s22, exec_lo
	v_cmpx_ne_u32_e32 0, v16
	s_cbranch_execz .LBB0_487
; %bb.480:                              ;   in Loop: Header=BB0_129 Depth=3
	v_bfe_u32 v19, v16, 23, 8
	v_and_b32_e32 v44, 0x7fffff, v16
	s_mov_b32 s23, exec_lo
	s_delay_alu instid0(VALU_DEP_2) | instskip(NEXT) | instid1(VALU_DEP_2)
	v_cmp_gt_u32_e32 vcc_lo, 0x7a, v19
	v_or_b32_e32 v45, 0x800000, v44
	v_sub_nc_u32_e32 v17, 0x79, v19
	s_delay_alu instid0(VALU_DEP_1) | instskip(SKIP_1) | instid1(VALU_DEP_4)
	v_cndmask_b32_e32 v17, 0, v17, vcc_lo
	v_cmp_eq_u32_e32 vcc_lo, 0, v19
	v_dual_cndmask_b32 v44, v45, v44 :: v_dual_mov_b32 v45, v55
	s_delay_alu instid0(VALU_DEP_3) | instskip(NEXT) | instid1(VALU_DEP_1)
	v_cndmask_b32_e64 v73, v17, 0x78, vcc_lo
	v_dual_add_nc_u32 v16, 20, v73 :: v_dual_add_nc_u32 v74, 19, v73
	s_delay_alu instid0(VALU_DEP_1) | instskip(NEXT) | instid1(VALU_DEP_2)
	v_lshlrev_b64_e64 v[16:17], v16, -1
	v_lshlrev_b64_e64 v[74:75], v74, 1
	s_delay_alu instid0(VALU_DEP_2) | instskip(NEXT) | instid1(VALU_DEP_3)
	v_bfi_b32 v77, v17, 0, 0
	v_bfi_b32 v76, v16, 0, v44
	v_lshrrev_b64 v[16:17], v73, v[44:45]
	s_delay_alu instid0(VALU_DEP_1) | instskip(NEXT) | instid1(VALU_DEP_3)
	v_mov_b64_e32 v[44:45], v[16:17]
	v_cmpx_eq_u64_e64 v[76:77], v[74:75]
; %bb.481:                              ;   in Loop: Header=BB0_129 Depth=3
	v_bfe_u32 v44, v16, 20, 1
	v_mov_b32_e32 v45, v55
	s_delay_alu instid0(VALU_DEP_1) | instskip(NEXT) | instid1(VALU_DEP_1)
	v_add_nc_u64_e32 v[44:45], v[16:17], v[44:45]
	v_add_nc_u64_e32 v[44:45], -1, v[44:45]
; %bb.482:                              ;   in Loop: Header=BB0_129 Depth=3
	s_or_b32 exec_lo, exec_lo, s23
	v_add_nc_u32_e32 v17, 0xffffff81, v19
	v_lshrrev_b32_e32 v19, 23, v16
	s_mov_b32 s9, exec_lo
	s_delay_alu instid0(VALU_DEP_2) | instskip(NEXT) | instid1(VALU_DEP_1)
	v_cndmask_b32_e64 v17, v17, 0xffffff82, vcc_lo
	v_add3_u32 v45, v73, v17, v19
	v_and_b32_e32 v17, 0xfffff, v44
                                        ; implicit-def: $vgpr19
	s_delay_alu instid0(VALU_DEP_1) | instskip(SKIP_1) | instid1(VALU_DEP_2)
	v_dual_add_nc_u32 v44, 6, v45 :: v_dual_add_nc_u32 v16, v17, v16
	v_mov_b32_e32 v17, v55
	v_cmpx_ne_u32_e32 0, v44
	s_xor_b32 s9, exec_lo, s9
; %bb.483:                              ;   in Loop: Header=BB0_129 Depth=3
	s_delay_alu instid0(VALU_DEP_2) | instskip(SKIP_1) | instid1(VALU_DEP_1)
	v_cmp_lt_u64_e32 vcc_lo, 0xffffff, v[16:17]
	v_add_nc_u32_e32 v19, 7, v45
	v_cndmask_b32_e32 v19, v44, v19, vcc_lo
	v_cndmask_b32_e64 v44, 0, 1, vcc_lo
	s_delay_alu instid0(VALU_DEP_1)
	v_lshrrev_b64 v[16:17], v44, v[16:17]
; %bb.484:                              ;   in Loop: Header=BB0_129 Depth=3
	s_and_not1_saveexec_b32 s9, s9
; %bb.485:                              ;   in Loop: Header=BB0_129 Depth=3
	s_delay_alu instid0(VALU_DEP_1)
	v_bfe_u32 v19, v16, 23, 1
; %bb.486:                              ;   in Loop: Header=BB0_129 Depth=3
	s_or_b32 exec_lo, exec_lo, s9
	s_delay_alu instid0(VALU_DEP_2) | instskip(NEXT) | instid1(VALU_DEP_2)
	v_lshrrev_b64 v[16:17], 20, v[16:17]
	v_cmp_gt_i32_e32 vcc_lo, 16, v19
	v_min_i32_e32 v44, 15, v19
	v_cmp_eq_u32_e64 s9, 0, v19
	s_delay_alu instid0(VALU_DEP_2) | instskip(SKIP_1) | instid1(VALU_DEP_2)
	v_dual_cndmask_b32 v17, 0, v17 :: v_dual_lshlrev_b32 v44, 3, v44
	v_cndmask_b32_e32 v16, 7, v16, vcc_lo
	v_and_b32_e32 v44, 0xf8, v44
	s_delay_alu instid0(VALU_DEP_2) | instskip(NEXT) | instid1(VALU_DEP_2)
	v_cmp_eq_u64_e32 vcc_lo, 0, v[16:17]
	v_and_or_b32 v16, v16, 7, v44
	s_and_b32 s9, s9, vcc_lo
	s_delay_alu instid0(VALU_DEP_1) | instid1(SALU_CYCLE_1)
	v_cndmask_b32_e64 v16, v16, 0, s9
	s_delay_alu instid0(VALU_DEP_1)
	v_or_b32_e32 v44, v16, v5
.LBB0_487:                              ;   in Loop: Header=BB0_129 Depth=3
	s_or_b32 exec_lo, exec_lo, s22
                                        ; implicit-def: $vgpr5
.LBB0_488:                              ;   in Loop: Header=BB0_129 Depth=3
	s_and_not1_saveexec_b32 s9, s21
; %bb.489:                              ;   in Loop: Header=BB0_129 Depth=3
	v_or_b32_e32 v44, 0x7e, v5
; %bb.490:                              ;   in Loop: Header=BB0_129 Depth=3
	s_or_b32 exec_lo, exec_lo, s9
                                        ; implicit-def: $vgpr5
.LBB0_491:                              ;   in Loop: Header=BB0_129 Depth=3
	s_and_not1_saveexec_b32 s9, s20
; %bb.492:                              ;   in Loop: Header=BB0_129 Depth=3
	v_or_b32_e32 v44, 0x7f, v5
; %bb.493:                              ;   in Loop: Header=BB0_129 Depth=3
	s_or_b32 exec_lo, exec_lo, s9
	v_and_b32_e32 v16, 0xff000000, v18
	v_dual_mov_b32 v17, v55 :: v_dual_lshrrev_b32 v5, 24, v18
	v_lshrrev_b32_e32 v45, 24, v4
	s_delay_alu instid0(VALU_DEP_2) | instskip(SKIP_1) | instid1(SALU_CYCLE_1)
	v_cmp_ne_u64_e32 vcc_lo, 0, v[16:17]
                                        ; implicit-def: $vgpr16
	s_and_saveexec_b32 s9, s6
	s_xor_b32 s20, exec_lo, s9
	s_cbranch_execz .LBB0_511
; %bb.494:                              ;   in Loop: Header=BB0_129 Depth=3
	v_dual_mov_b32 v19, 0 :: v_dual_mov_b32 v16, 0
	s_and_saveexec_b32 s21, vcc_lo
	s_cbranch_execz .LBB0_502
; %bb.495:                              ;   in Loop: Header=BB0_129 Depth=3
	v_bfrev_b32_e32 v16, 1
	s_mov_b32 s22, exec_lo
	v_cmpx_ne_u32_e32 0x80, v5
	s_cbranch_execz .LBB0_501
; %bb.496:                              ;   in Loop: Header=BB0_129 Depth=3
	v_bfe_u32 v73, v18, 24, 7
	v_mov_b32_e32 v16, 0x7f800001
	s_mov_b32 s23, exec_lo
	s_delay_alu instid0(VALU_DEP_2)
	v_cmpx_ne_u32_e32 0x7f, v73
	s_cbranch_execz .LBB0_500
; %bb.497:                              ;   in Loop: Header=BB0_129 Depth=3
	v_dual_mov_b32 v17, v55 :: v_dual_bitop2_b32 v16, 7, v5 bitop3:0x40
	v_lshrrev_b32_e32 v18, 3, v73
	s_mov_b32 s24, exec_lo
	v_cmpx_gt_u32_e32 8, v73
; %bb.498:                              ;   in Loop: Header=BB0_129 Depth=3
	s_delay_alu instid0(VALU_DEP_3) | instskip(NEXT) | instid1(VALU_DEP_1)
	v_clz_i32_u32_e32 v18, v16
	v_min_u32_e32 v18, 32, v18
	s_delay_alu instid0(VALU_DEP_1) | instskip(NEXT) | instid1(VALU_DEP_1)
	v_subrev_nc_u32_e32 v73, 28, v18
	v_lshlrev_b64_e32 v[16:17], v73, v[16:17]
	s_delay_alu instid0(VALU_DEP_1)
	v_dual_sub_nc_u32 v18, 29, v18 :: v_dual_bitop2_b32 v16, 7, v16 bitop3:0x40
; %bb.499:                              ;   in Loop: Header=BB0_129 Depth=3
	s_or_b32 exec_lo, exec_lo, s24
	s_delay_alu instid0(VALU_DEP_1) | instskip(NEXT) | instid1(VALU_DEP_2)
	v_dual_lshlrev_b32 v5, 24, v5 :: v_dual_lshlrev_b32 v16, 20, v16
	v_lshl_add_u32 v17, v18, 23, 0x3c000000
	s_delay_alu instid0(VALU_DEP_2) | instskip(NEXT) | instid1(VALU_DEP_1)
	v_and_b32_e32 v5, 0x80000000, v5
	v_or3_b32 v16, v16, v5, v17
.LBB0_500:                              ;   in Loop: Header=BB0_129 Depth=3
	s_or_b32 exec_lo, exec_lo, s23
.LBB0_501:                              ;   in Loop: Header=BB0_129 Depth=3
	s_delay_alu instid0(SALU_CYCLE_1)
	s_or_b32 exec_lo, exec_lo, s22
.LBB0_502:                              ;   in Loop: Header=BB0_129 Depth=3
	s_delay_alu instid0(SALU_CYCLE_1) | instskip(NEXT) | instid1(SALU_CYCLE_1)
	s_or_b32 exec_lo, exec_lo, s21
	s_mov_b32 s21, exec_lo
	v_cmpx_lt_u32_e32 0xffffff, v4
	s_cbranch_execz .LBB0_510
; %bb.503:                              ;   in Loop: Header=BB0_129 Depth=3
	v_bfrev_b32_e32 v19, 1
	s_mov_b32 s22, exec_lo
	v_cmpx_ne_u32_e32 0x80, v45
	s_cbranch_execz .LBB0_509
; %bb.504:                              ;   in Loop: Header=BB0_129 Depth=3
	v_bfe_u32 v18, v4, 24, 7
	v_mov_b32_e32 v19, 0x7f800001
	s_mov_b32 s23, exec_lo
	s_delay_alu instid0(VALU_DEP_2)
	v_cmpx_ne_u32_e32 0x7f, v18
	s_cbranch_execz .LBB0_508
; %bb.505:                              ;   in Loop: Header=BB0_129 Depth=3
	v_dual_mov_b32 v5, v55 :: v_dual_bitop2_b32 v4, 7, v45 bitop3:0x40
	v_lshrrev_b32_e32 v17, 3, v18
	s_mov_b32 s24, exec_lo
	v_cmpx_gt_u32_e32 8, v18
; %bb.506:                              ;   in Loop: Header=BB0_129 Depth=3
	s_delay_alu instid0(VALU_DEP_3) | instskip(NEXT) | instid1(VALU_DEP_1)
	v_clz_i32_u32_e32 v17, v4
	v_min_u32_e32 v17, 32, v17
	s_delay_alu instid0(VALU_DEP_1) | instskip(NEXT) | instid1(VALU_DEP_1)
	v_subrev_nc_u32_e32 v18, 28, v17
	v_lshlrev_b64_e32 v[4:5], v18, v[4:5]
	s_delay_alu instid0(VALU_DEP_1)
	v_dual_sub_nc_u32 v17, 29, v17 :: v_dual_bitop2_b32 v4, 7, v4 bitop3:0x40
; %bb.507:                              ;   in Loop: Header=BB0_129 Depth=3
	s_or_b32 exec_lo, exec_lo, s24
	s_delay_alu instid0(VALU_DEP_1) | instskip(NEXT) | instid1(VALU_DEP_2)
	v_dual_lshlrev_b32 v5, 24, v45 :: v_dual_lshlrev_b32 v4, 20, v4
	v_lshl_add_u32 v17, v17, 23, 0x3c000000
	s_delay_alu instid0(VALU_DEP_2) | instskip(NEXT) | instid1(VALU_DEP_1)
	v_and_b32_e32 v5, 0x80000000, v5
	v_or3_b32 v19, v4, v5, v17
.LBB0_508:                              ;   in Loop: Header=BB0_129 Depth=3
	s_or_b32 exec_lo, exec_lo, s23
.LBB0_509:                              ;   in Loop: Header=BB0_129 Depth=3
	s_delay_alu instid0(SALU_CYCLE_1)
	s_or_b32 exec_lo, exec_lo, s22
.LBB0_510:                              ;   in Loop: Header=BB0_129 Depth=3
	s_delay_alu instid0(SALU_CYCLE_1) | instskip(NEXT) | instid1(VALU_DEP_1)
	s_or_b32 exec_lo, exec_lo, s21
	v_dual_max_num_f32 v4, v19, v19 :: v_dual_max_num_f32 v5, v16, v16
                                        ; implicit-def: $vgpr45
                                        ; implicit-def: $vgpr18_vgpr19
	s_delay_alu instid0(VALU_DEP_1)
	v_max_num_f32_e32 v16, v5, v4
                                        ; implicit-def: $vgpr4_vgpr5
                                        ; implicit-def: $vgpr5
.LBB0_511:                              ;   in Loop: Header=BB0_129 Depth=3
	s_and_not1_saveexec_b32 s9, s20
	s_cbranch_execz .LBB0_529
; %bb.512:                              ;   in Loop: Header=BB0_129 Depth=3
	v_dual_mov_b32 v19, 0 :: v_dual_mov_b32 v16, 0
	s_and_saveexec_b32 s20, vcc_lo
	s_cbranch_execz .LBB0_520
; %bb.513:                              ;   in Loop: Header=BB0_129 Depth=3
	v_bfrev_b32_e32 v16, 1
	s_mov_b32 s21, exec_lo
	v_cmpx_ne_u32_e32 0x80, v5
	s_cbranch_execz .LBB0_519
; %bb.514:                              ;   in Loop: Header=BB0_129 Depth=3
	v_bfe_u32 v73, v18, 24, 7
	v_mov_b32_e32 v16, 0x7f800001
	s_mov_b32 s22, exec_lo
	s_delay_alu instid0(VALU_DEP_2)
	v_cmpx_ne_u32_e32 0x7f, v73
	s_cbranch_execz .LBB0_518
; %bb.515:                              ;   in Loop: Header=BB0_129 Depth=3
	v_dual_mov_b32 v17, v55 :: v_dual_bitop2_b32 v16, 7, v5 bitop3:0x40
	v_lshrrev_b32_e32 v18, 3, v73
	s_mov_b32 s23, exec_lo
	v_cmpx_gt_u32_e32 8, v73
; %bb.516:                              ;   in Loop: Header=BB0_129 Depth=3
	s_delay_alu instid0(VALU_DEP_3) | instskip(NEXT) | instid1(VALU_DEP_1)
	v_clz_i32_u32_e32 v18, v16
	v_min_u32_e32 v18, 32, v18
	s_delay_alu instid0(VALU_DEP_1) | instskip(NEXT) | instid1(VALU_DEP_1)
	v_subrev_nc_u32_e32 v73, 28, v18
	v_lshlrev_b64_e32 v[16:17], v73, v[16:17]
	s_delay_alu instid0(VALU_DEP_1)
	v_dual_sub_nc_u32 v18, 29, v18 :: v_dual_bitop2_b32 v16, 7, v16 bitop3:0x40
; %bb.517:                              ;   in Loop: Header=BB0_129 Depth=3
	s_or_b32 exec_lo, exec_lo, s23
	s_delay_alu instid0(VALU_DEP_1) | instskip(NEXT) | instid1(VALU_DEP_2)
	v_dual_lshlrev_b32 v5, 24, v5 :: v_dual_lshlrev_b32 v16, 20, v16
	v_lshl_add_u32 v17, v18, 23, 0x3c000000
	s_delay_alu instid0(VALU_DEP_2) | instskip(NEXT) | instid1(VALU_DEP_1)
	v_and_b32_e32 v5, 0x80000000, v5
	v_or3_b32 v16, v16, v5, v17
.LBB0_518:                              ;   in Loop: Header=BB0_129 Depth=3
	s_or_b32 exec_lo, exec_lo, s22
.LBB0_519:                              ;   in Loop: Header=BB0_129 Depth=3
	s_delay_alu instid0(SALU_CYCLE_1)
	s_or_b32 exec_lo, exec_lo, s21
.LBB0_520:                              ;   in Loop: Header=BB0_129 Depth=3
	s_delay_alu instid0(SALU_CYCLE_1) | instskip(NEXT) | instid1(SALU_CYCLE_1)
	s_or_b32 exec_lo, exec_lo, s20
	s_mov_b32 s20, exec_lo
	v_cmpx_lt_u32_e32 0xffffff, v4
	s_cbranch_execz .LBB0_528
; %bb.521:                              ;   in Loop: Header=BB0_129 Depth=3
	v_bfrev_b32_e32 v19, 1
	s_mov_b32 s21, exec_lo
	v_cmpx_ne_u32_e32 0x80, v45
	s_cbranch_execz .LBB0_527
; %bb.522:                              ;   in Loop: Header=BB0_129 Depth=3
	v_bfe_u32 v18, v4, 24, 7
	v_mov_b32_e32 v19, 0x7f800001
	s_mov_b32 s22, exec_lo
	s_delay_alu instid0(VALU_DEP_2)
	v_cmpx_ne_u32_e32 0x7f, v18
	s_cbranch_execz .LBB0_526
; %bb.523:                              ;   in Loop: Header=BB0_129 Depth=3
	v_dual_mov_b32 v5, v55 :: v_dual_bitop2_b32 v4, 7, v45 bitop3:0x40
	v_lshrrev_b32_e32 v17, 3, v18
	s_mov_b32 s23, exec_lo
	v_cmpx_gt_u32_e32 8, v18
; %bb.524:                              ;   in Loop: Header=BB0_129 Depth=3
	s_delay_alu instid0(VALU_DEP_3) | instskip(NEXT) | instid1(VALU_DEP_1)
	v_clz_i32_u32_e32 v17, v4
	v_min_u32_e32 v17, 32, v17
	s_delay_alu instid0(VALU_DEP_1) | instskip(NEXT) | instid1(VALU_DEP_1)
	v_subrev_nc_u32_e32 v18, 28, v17
	v_lshlrev_b64_e32 v[4:5], v18, v[4:5]
	s_delay_alu instid0(VALU_DEP_1)
	v_dual_sub_nc_u32 v17, 29, v17 :: v_dual_bitop2_b32 v4, 7, v4 bitop3:0x40
; %bb.525:                              ;   in Loop: Header=BB0_129 Depth=3
	s_or_b32 exec_lo, exec_lo, s23
	s_delay_alu instid0(VALU_DEP_1) | instskip(NEXT) | instid1(VALU_DEP_2)
	v_dual_lshlrev_b32 v5, 24, v45 :: v_dual_lshlrev_b32 v4, 20, v4
	v_lshl_add_u32 v17, v17, 23, 0x3c000000
	s_delay_alu instid0(VALU_DEP_2) | instskip(NEXT) | instid1(VALU_DEP_1)
	v_and_b32_e32 v5, 0x80000000, v5
	v_or3_b32 v19, v4, v5, v17
.LBB0_526:                              ;   in Loop: Header=BB0_129 Depth=3
	s_or_b32 exec_lo, exec_lo, s22
.LBB0_527:                              ;   in Loop: Header=BB0_129 Depth=3
	s_delay_alu instid0(SALU_CYCLE_1)
	s_or_b32 exec_lo, exec_lo, s21
.LBB0_528:                              ;   in Loop: Header=BB0_129 Depth=3
	s_delay_alu instid0(SALU_CYCLE_1) | instskip(NEXT) | instid1(VALU_DEP_1)
	s_or_b32 exec_lo, exec_lo, s20
	v_dual_max_num_f32 v4, v19, v19 :: v_dual_max_num_f32 v5, v16, v16
	s_delay_alu instid0(VALU_DEP_1)
	v_min_num_f32_e32 v16, v5, v4
.LBB0_529:                              ;   in Loop: Header=BB0_129 Depth=3
	s_or_b32 exec_lo, exec_lo, s9
	s_delay_alu instid0(VALU_DEP_1) | instskip(SKIP_1) | instid1(VALU_DEP_1)
	v_and_b32_e32 v4, 0x7f800000, v16
	v_mov_b32_e32 v5, v55
	v_cmp_ne_u64_e32 vcc_lo, 0x7f800000, v[4:5]
	v_lshrrev_b32_e32 v5, 24, v16
                                        ; implicit-def: $vgpr4
	s_and_saveexec_b32 s9, vcc_lo
	s_delay_alu instid0(SALU_CYCLE_1)
	s_xor_b32 s20, exec_lo, s9
	s_cbranch_execz .LBB0_543
; %bb.530:                              ;   in Loop: Header=BB0_129 Depth=3
	v_and_b32_e32 v18, 0x7fffffff, v16
	v_mov_b32_e32 v19, v55
                                        ; implicit-def: $vgpr4
	s_delay_alu instid0(VALU_DEP_1) | instskip(SKIP_2) | instid1(SALU_CYCLE_1)
	v_cmp_gt_u64_e32 vcc_lo, 0x43e00001, v[18:19]
	v_and_b32_e32 v18, 0x80, v5
	s_and_saveexec_b32 s9, vcc_lo
	s_xor_b32 s21, exec_lo, s9
	s_cbranch_execz .LBB0_540
; %bb.531:                              ;   in Loop: Header=BB0_129 Depth=3
	v_mov_b32_e32 v4, 0
	s_mov_b32 s22, exec_lo
	v_cmpx_ne_u32_e32 0, v16
	s_cbranch_execz .LBB0_539
; %bb.532:                              ;   in Loop: Header=BB0_129 Depth=3
	v_bfe_u32 v19, v16, 23, 8
	v_and_b32_e32 v16, 0x7fffff, v16
	s_mov_b32 s23, exec_lo
	s_delay_alu instid0(VALU_DEP_2) | instskip(SKIP_1) | instid1(VALU_DEP_3)
	v_sub_nc_u32_e32 v4, 0x79, v19
	v_cmp_gt_u32_e32 vcc_lo, 0x7a, v19
	v_or_b32_e32 v17, 0x800000, v16
	s_delay_alu instid0(VALU_DEP_3) | instskip(SKIP_1) | instid1(VALU_DEP_2)
	v_cndmask_b32_e32 v4, 0, v4, vcc_lo
	v_cmp_eq_u32_e32 vcc_lo, 0, v19
	v_cndmask_b32_e64 v45, v4, 0x78, vcc_lo
	s_delay_alu instid0(VALU_DEP_4) | instskip(NEXT) | instid1(VALU_DEP_2)
	v_dual_cndmask_b32 v16, v17, v16 :: v_dual_mov_b32 v17, v55
	v_dual_add_nc_u32 v4, 20, v45 :: v_dual_add_nc_u32 v73, 19, v45
	s_delay_alu instid0(VALU_DEP_1) | instskip(NEXT) | instid1(VALU_DEP_2)
	v_lshlrev_b64_e64 v[4:5], v4, -1
	v_lshlrev_b64_e64 v[74:75], v73, 1
	s_delay_alu instid0(VALU_DEP_2) | instskip(NEXT) | instid1(VALU_DEP_3)
	v_bfi_b32 v77, v5, 0, 0
	v_bfi_b32 v76, v4, 0, v16
	v_lshrrev_b64 v[4:5], v45, v[16:17]
	s_delay_alu instid0(VALU_DEP_1) | instskip(NEXT) | instid1(VALU_DEP_3)
	v_mov_b64_e32 v[16:17], v[4:5]
	v_cmpx_eq_u64_e64 v[76:77], v[74:75]
; %bb.533:                              ;   in Loop: Header=BB0_129 Depth=3
	v_bfe_u32 v16, v4, 20, 1
	v_mov_b32_e32 v17, v55
	s_delay_alu instid0(VALU_DEP_1) | instskip(NEXT) | instid1(VALU_DEP_1)
	v_add_nc_u64_e32 v[16:17], v[4:5], v[16:17]
	v_add_nc_u64_e32 v[16:17], -1, v[16:17]
; %bb.534:                              ;   in Loop: Header=BB0_129 Depth=3
	s_or_b32 exec_lo, exec_lo, s23
	v_add_nc_u32_e32 v5, 0xffffff81, v19
	v_lshrrev_b32_e32 v17, 23, v4
	s_mov_b32 s9, exec_lo
	s_delay_alu instid0(VALU_DEP_2) | instskip(NEXT) | instid1(VALU_DEP_1)
	v_cndmask_b32_e64 v5, v5, 0xffffff82, vcc_lo
	v_add3_u32 v17, v45, v5, v17
	v_and_b32_e32 v5, 0xfffff, v16
                                        ; implicit-def: $vgpr16
	s_delay_alu instid0(VALU_DEP_1) | instskip(SKIP_1) | instid1(VALU_DEP_2)
	v_dual_add_nc_u32 v19, 6, v17 :: v_dual_add_nc_u32 v4, v5, v4
	v_mov_b32_e32 v5, v55
	v_cmpx_ne_u32_e32 0, v19
	s_xor_b32 s9, exec_lo, s9
; %bb.535:                              ;   in Loop: Header=BB0_129 Depth=3
	s_delay_alu instid0(VALU_DEP_2) | instskip(SKIP_2) | instid1(VALU_DEP_2)
	v_cmp_lt_u64_e32 vcc_lo, 0xffffff, v[4:5]
	v_add_nc_u32_e32 v16, 7, v17
	v_cndmask_b32_e64 v17, 0, 1, vcc_lo
	v_cndmask_b32_e32 v16, v19, v16, vcc_lo
	s_delay_alu instid0(VALU_DEP_2)
	v_lshrrev_b64 v[4:5], v17, v[4:5]
; %bb.536:                              ;   in Loop: Header=BB0_129 Depth=3
	s_and_not1_saveexec_b32 s9, s9
; %bb.537:                              ;   in Loop: Header=BB0_129 Depth=3
	s_delay_alu instid0(VALU_DEP_1)
	v_bfe_u32 v16, v4, 23, 1
; %bb.538:                              ;   in Loop: Header=BB0_129 Depth=3
	s_or_b32 exec_lo, exec_lo, s9
	s_delay_alu instid0(VALU_DEP_2) | instskip(NEXT) | instid1(VALU_DEP_2)
	v_lshrrev_b64 v[4:5], 20, v[4:5]
	v_cmp_gt_i32_e32 vcc_lo, 16, v16
	v_min_i32_e32 v17, 15, v16
	v_cmp_eq_u32_e64 s9, 0, v16
	s_delay_alu instid0(VALU_DEP_4) | instskip(NEXT) | instid1(VALU_DEP_3)
	v_cndmask_b32_e32 v5, 0, v5, vcc_lo
	v_dual_cndmask_b32 v4, 7, v4 :: v_dual_lshlrev_b32 v17, 3, v17
	s_delay_alu instid0(VALU_DEP_1) | instskip(NEXT) | instid1(VALU_DEP_2)
	v_and_b32_e32 v17, 0xf8, v17
	v_cmp_eq_u64_e32 vcc_lo, 0, v[4:5]
	s_delay_alu instid0(VALU_DEP_2)
	v_and_or_b32 v4, v4, 7, v17
	s_and_b32 s9, s9, vcc_lo
	s_delay_alu instid0(VALU_DEP_1) | instid1(SALU_CYCLE_1)
	v_cndmask_b32_e64 v4, v4, 0, s9
	s_delay_alu instid0(VALU_DEP_1)
	v_or_b32_e32 v4, v4, v18
.LBB0_539:                              ;   in Loop: Header=BB0_129 Depth=3
	s_or_b32 exec_lo, exec_lo, s22
                                        ; implicit-def: $vgpr18
.LBB0_540:                              ;   in Loop: Header=BB0_129 Depth=3
	s_and_not1_saveexec_b32 s9, s21
; %bb.541:                              ;   in Loop: Header=BB0_129 Depth=3
	v_or_b32_e32 v4, 0x7e, v18
; %bb.542:                              ;   in Loop: Header=BB0_129 Depth=3
	s_or_b32 exec_lo, exec_lo, s9
                                        ; implicit-def: $vgpr5
.LBB0_543:                              ;   in Loop: Header=BB0_129 Depth=3
	s_and_not1_saveexec_b32 s9, s20
	s_cbranch_execz .LBB0_128
; %bb.544:                              ;   in Loop: Header=BB0_129 Depth=3
	v_or_b32_e32 v4, 0x7f, v5
	s_branch .LBB0_128
.LBB0_545:                              ;   in Loop: Header=BB0_85 Depth=2
	s_or_b32 exec_lo, exec_lo, s19
	s_delay_alu instid0(SALU_CYCLE_1)
	s_or_b32 exec_lo, exec_lo, s18
	s_and_saveexec_b32 s9, s3
	s_cbranch_execz .LBB0_122
.LBB0_546:                              ;   in Loop: Header=BB0_85 Depth=2
	s_and_saveexec_b32 s18, s4
	s_delay_alu instid0(SALU_CYCLE_1)
	s_xor_b32 s18, exec_lo, s18
	s_cbranch_execz .LBB0_561
; %bb.547:                              ;   in Loop: Header=BB0_85 Depth=2
	s_and_saveexec_b32 s19, s5
	s_cbranch_execz .LBB0_560
; %bb.548:                              ;   in Loop: Header=BB0_85 Depth=2
	s_mov_b32 s21, exec_lo
	s_mov_b32 s20, exec_lo
	v_mbcnt_lo_u32_b32 v2, s21, 0
	global_wb scope:SCOPE_DEV
	s_wait_storecnt 0x0
	s_wait_loadcnt_dscnt 0x0
	global_inv scope:SCOPE_DEV
	v_cmpx_eq_u32_e32 0, v2
	s_cbranch_execz .LBB0_550
; %bb.549:                              ;   in Loop: Header=BB0_85 Depth=2
	s_bcnt1_i32_b32 s21, s21
	s_delay_alu instid0(SALU_CYCLE_1)
	v_dual_mov_b32 v5, v55 :: v_dual_mov_b32 v4, s21
	s_wait_loadcnt 0x0
	ds_add_u64 v0, v[4:5]
	s_trap 2
.LBB0_550:                              ;   in Loop: Header=BB0_85 Depth=2
	s_or_b32 exec_lo, exec_lo, s20
	s_trap 2
	ds_load_b64 v[4:5], v0
	s_wait_dscnt 0x0
	v_add_nc_u64_e32 v[52:53], v[52:53], v[82:83]
	s_mov_b32 s20, exec_lo
	s_delay_alu instid0(VALU_DEP_1)
	v_cmpx_lt_u64_e64 v[4:5], v[52:53]
	s_cbranch_execz .LBB0_559
; %bb.551:                              ;   in Loop: Header=BB0_85 Depth=2
	s_mov_b32 s21, 0
	s_mov_b32 s24, 0
                                        ; implicit-def: $sgpr22
                                        ; implicit-def: $sgpr23
	s_branch .LBB0_553
.LBB0_552:                              ;   in Loop: Header=BB0_553 Depth=3
	s_or_b32 exec_lo, exec_lo, s26
	s_delay_alu instid0(SALU_CYCLE_1) | instskip(NEXT) | instid1(SALU_CYCLE_1)
	s_and_b32 s25, exec_lo, s27
	s_or_b32 s21, s25, s21
	s_and_not1_b32 s22, s22, exec_lo
	s_and_b32 s25, s23, exec_lo
	s_delay_alu instid0(SALU_CYCLE_1)
	s_or_b32 s22, s22, s25
	s_and_not1_b32 exec_lo, exec_lo, s21
	s_cbranch_execz .LBB0_557
.LBB0_553:                              ;   Parent Loop BB0_36 Depth=1
                                        ;     Parent Loop BB0_85 Depth=2
                                        ; =>    This Inner Loop Header: Depth=3
	s_add_co_i32 s24, s24, 1
	s_delay_alu instid0(SALU_CYCLE_1) | instskip(SKIP_1) | instid1(SALU_CYCLE_1)
	s_cmp_lg_u32 s24, 0x2710
	s_cselect_b32 s25, -1, 0
	s_and_b32 vcc_lo, exec_lo, s25
	s_cbranch_vccz .LBB0_555
; %bb.554:                              ;   in Loop: Header=BB0_553 Depth=3
	s_mov_b32 s27, -1
	s_or_b32 s23, s23, exec_lo
	s_and_saveexec_b32 s26, s25
	s_cbranch_execz .LBB0_552
	s_branch .LBB0_556
.LBB0_555:                              ;   in Loop: Header=BB0_553 Depth=3
	s_trap 2
	ds_load_b64 v[4:5], v0
	s_and_not1_b32 s25, s25, exec_lo
	s_mov_b32 s24, 0
	s_wait_loadcnt_dscnt 0x0
	flat_load_b32 v2, v[4:5] scope:SCOPE_SYS
	s_wait_loadcnt_dscnt 0x0
	global_inv scope:SCOPE_SYS
	v_cmp_eq_u32_e32 vcc_lo, 0, v2
	s_and_b32 s26, vcc_lo, exec_lo
	s_delay_alu instid0(SALU_CYCLE_1)
	s_or_b32 s25, s25, s26
	s_mov_b32 s27, -1
	s_or_b32 s23, s23, exec_lo
	s_and_saveexec_b32 s26, s25
	s_cbranch_execz .LBB0_552
.LBB0_556:                              ;   in Loop: Header=BB0_553 Depth=3
	s_sleep 1
	s_trap 2
	ds_load_b64 v[4:5], v0
	s_wait_dscnt 0x0
	s_and_not1_b32 s23, s23, exec_lo
	v_cmp_ge_u64_e32 vcc_lo, v[4:5], v[52:53]
	s_or_not1_b32 s27, vcc_lo, exec_lo
	s_branch .LBB0_552
.LBB0_557:                              ;   in Loop: Header=BB0_85 Depth=2
	s_or_b32 exec_lo, exec_lo, s21
	s_and_saveexec_b32 s21, s22
	s_delay_alu instid0(SALU_CYCLE_1)
	s_xor_b32 s21, exec_lo, s21
	s_cbranch_execz .LBB0_559
; %bb.558:                              ;   in Loop: Header=BB0_85 Depth=2
	ds_store_b32 v0, v1
	s_trap 2
.LBB0_559:                              ;   in Loop: Header=BB0_85 Depth=2
	s_or_b32 exec_lo, exec_lo, s20
	;;#ASMSTART
	s_wakeup
	;;#ASMEND
.LBB0_560:                              ;   in Loop: Header=BB0_85 Depth=2
	s_or_b32 exec_lo, exec_lo, s19
.LBB0_561:                              ;   in Loop: Header=BB0_85 Depth=2
	s_and_not1_saveexec_b32 s18, s18
	s_cbranch_execz .LBB0_563
; %bb.562:                              ;   in Loop: Header=BB0_85 Depth=2
	global_wb scope:SCOPE_DEV
	s_wait_storecnt 0x0
	s_wait_loadcnt_dscnt 0x0
	global_inv scope:SCOPE_DEV
	s_barrier_signal -1
	s_barrier_wait -1
.LBB0_563:                              ;   in Loop: Header=BB0_85 Depth=2
	s_or_b32 exec_lo, exec_lo, s18
	s_delay_alu instid0(SALU_CYCLE_1)
	s_or_b32 exec_lo, exec_lo, s9
	s_and_saveexec_b32 s9, s7
	s_cbranch_execnz .LBB0_123
	s_branch .LBB0_124
.LBB0_564:                              ;   in Loop: Header=BB0_36 Depth=1
	s_delay_alu instid0(VALU_DEP_1)
	v_mov_b64_e32 v[16:17], v[114:115]
	s_and_saveexec_b32 s9, s8
	s_cbranch_execnz .LBB0_567
; %bb.565:                              ;   in Loop: Header=BB0_36 Depth=1
	s_or_b32 exec_lo, exec_lo, s9
	s_and_saveexec_b32 s8, s3
	s_cbranch_execnz .LBB0_1004
.LBB0_566:                              ;   in Loop: Header=BB0_36 Depth=1
	s_or_b32 exec_lo, exec_lo, s8
	s_and_saveexec_b32 s8, s7
	s_cbranch_execz .LBB0_35
	s_branch .LBB0_1022
.LBB0_567:                              ;   in Loop: Header=BB0_36 Depth=1
	flat_load_b32 v4, v[22:23]
	v_add_nc_u64_e32 v[2:3], v[10:11], v[112:113]
	v_dual_mov_b32 v116, v0 :: v_dual_bitop2_b32 v5, 7, v34 bitop3:0x40
	s_mov_b32 s17, 0
	v_add_nc_u32_e32 v42, 1, v34
	s_wait_loadcnt_dscnt 0x0
	s_delay_alu instid0(VALU_DEP_3) | instskip(SKIP_1) | instid1(VALU_DEP_2)
	v_mad_nc_u64_u32 v[2:3], v68, v4, v[2:3]
	v_ashrrev_i32_e32 v18, 31, v4
	v_mad_u32 v3, v69, v4, v3
	v_mul_lo_u32 v4, v5, s14
	s_delay_alu instid0(VALU_DEP_2) | instskip(NEXT) | instid1(VALU_DEP_2)
	v_mad_u32 v3, v68, v18, v3
	v_ashrrev_i32_e32 v5, 31, v4
	v_add_nc_u64_e32 v[18:19], v[8:9], v[112:113]
	s_delay_alu instid0(VALU_DEP_2) | instskip(NEXT) | instid1(VALU_DEP_4)
	v_lshl_add_u64 v[114:115], v[4:5], 4, v[32:33]
	v_add_nc_u64_e32 v[112:113], v[2:3], v[84:85]
	s_branch .LBB0_569
.LBB0_568:                              ;   in Loop: Header=BB0_569 Depth=2
	v_dual_sub_nc_u32 v57, v57, v86 :: v_dual_add_nc_u32 v116, v116, v20
	v_add_nc_u64_e32 v[112:113], v[112:113], v[86:87]
	s_wait_xcnt 0x0
	v_add_nc_u64_e32 v[18:19], v[18:19], v[86:87]
	s_delay_alu instid0(VALU_DEP_3) | instskip(SKIP_1) | instid1(SALU_CYCLE_1)
	v_cmp_gt_i32_e32 vcc_lo, 1, v57
	s_or_b32 s17, vcc_lo, s17
	s_and_not1_b32 exec_lo, exec_lo, s17
	s_cbranch_execz .LBB0_1003
.LBB0_569:                              ;   Parent Loop BB0_36 Depth=1
                                        ; =>  This Loop Header: Depth=2
                                        ;       Child Loop BB0_577 Depth 3
	s_delay_alu instid0(VALU_DEP_1)
	v_dual_mov_b32 v3, v113 :: v_dual_bitop2_b32 v2, -4, v112 bitop3:0x40
	v_min_u32_e32 v4, 8, v57
	v_dual_mov_b32 v44, 0 :: v_dual_bitop2_b32 v5, 3, v112 bitop3:0x40
	v_mov_b32_e32 v45, 0
	global_load_b32 v40, v[2:3], off th:TH_LOAD_NT
	s_mov_b32 s8, exec_lo
	v_add_nc_u32_e32 v54, v5, v4
	s_wait_xcnt 0x0
	s_delay_alu instid0(VALU_DEP_1)
	v_cmpx_lt_u32_e32 4, v54
	s_cbranch_execz .LBB0_571
; %bb.570:                              ;   in Loop: Header=BB0_569 Depth=2
	global_load_b32 v45, v[2:3], off offset:4 th:TH_LOAD_NT
.LBB0_571:                              ;   in Loop: Header=BB0_569 Depth=2
	s_wait_xcnt 0x0
	s_or_b32 exec_lo, exec_lo, s8
	s_delay_alu instid0(SALU_CYCLE_1)
	s_mov_b32 s8, exec_lo
	v_cmpx_lt_u64_e32 8, v[54:55]
	s_cbranch_execz .LBB0_573
; %bb.572:                              ;   in Loop: Header=BB0_569 Depth=2
	global_load_b32 v44, v[2:3], off offset:8 th:TH_LOAD_NT
.LBB0_573:                              ;   in Loop: Header=BB0_569 Depth=2
	s_wait_xcnt 0x0
	s_or_b32 exec_lo, exec_lo, s8
	v_mov_b32_e32 v117, v55
	v_cmp_eq_u32_e32 vcc_lo, 0, v21
	v_mov_b32_e32 v21, 1
	s_delay_alu instid0(VALU_DEP_3)
	v_lshl_add_u64 v[118:119], v[116:117], 4, v[114:115]
	global_load_b128 v[2:5], v[118:119], off th:TH_LOAD_NT
	s_wait_xcnt 0x0
	s_and_saveexec_b32 s18, vcc_lo
	s_cbranch_execz .LBB0_585
; %bb.574:                              ;   in Loop: Header=BB0_569 Depth=2
	s_wait_loadcnt 0x0
	v_cmp_ne_u32_e32 vcc_lo, v42, v3
	v_cmp_ne_u32_e64 s8, v42, v5
	v_mov_b32_e32 v21, 0
	s_or_b32 s8, vcc_lo, s8
	s_delay_alu instid0(SALU_CYCLE_1)
	s_and_saveexec_b32 s19, s8
	s_cbranch_execz .LBB0_584
; %bb.575:                              ;   in Loop: Header=BB0_569 Depth=2
	s_mov_b32 s23, 1
	s_mov_b32 s21, 0
                                        ; implicit-def: $sgpr20
                                        ; implicit-def: $sgpr22
	s_branch .LBB0_577
.LBB0_576:                              ;   in Loop: Header=BB0_577 Depth=3
	s_or_b32 exec_lo, exec_lo, s25
	s_delay_alu instid0(SALU_CYCLE_1) | instskip(NEXT) | instid1(SALU_CYCLE_1)
	s_and_b32 s8, exec_lo, s8
	s_or_b32 s21, s8, s21
	s_and_not1_b32 s8, s20, exec_lo
	s_and_b32 s20, s22, exec_lo
	s_delay_alu instid0(SALU_CYCLE_1)
	s_or_b32 s20, s8, s20
	s_and_not1_b32 exec_lo, exec_lo, s21
	s_cbranch_execz .LBB0_581
.LBB0_577:                              ;   Parent Loop BB0_36 Depth=1
                                        ;     Parent Loop BB0_569 Depth=2
                                        ; =>    This Inner Loop Header: Depth=3
	s_wait_loadcnt 0x0
	global_load_b128 v[2:5], v[118:119], off th:TH_LOAD_NT
	s_add_co_i32 s23, s23, 1
	s_mov_b32 s8, -1
	s_cmp_lg_u32 s23, 0x2710
	s_mov_b32 s24, -1
                                        ; implicit-def: $vgpr54
	s_cbranch_scc0 .LBB0_579
; %bb.578:                              ;   in Loop: Header=BB0_577 Depth=3
	s_or_b32 s22, s22, exec_lo
	s_wait_xcnt 0x0
	s_and_saveexec_b32 s25, s24
	s_cbranch_execz .LBB0_576
	s_branch .LBB0_580
.LBB0_579:                              ;   in Loop: Header=BB0_577 Depth=3
	s_trap 2
	ds_load_b64 v[46:47], v0
	s_mov_b32 s23, 0
	s_wait_storecnt 0x0
	s_wait_loadcnt_dscnt 0x0
	flat_load_b32 v54, v[46:47] scope:SCOPE_SYS
	s_wait_loadcnt_dscnt 0x0
	global_inv scope:SCOPE_SYS
	v_cmp_eq_u32_e32 vcc_lo, 0, v54
	s_or_not1_b32 s24, vcc_lo, exec_lo
	s_or_b32 s22, s22, exec_lo
	s_wait_xcnt 0x0
	s_and_saveexec_b32 s25, s24
	s_cbranch_execz .LBB0_576
.LBB0_580:                              ;   in Loop: Header=BB0_577 Depth=3
	s_wait_loadcnt 0x0
	v_cmp_eq_u32_e32 vcc_lo, v42, v3
	v_cmp_eq_u32_e64 s8, v42, v5
	s_and_not1_b32 s22, s22, exec_lo
	s_and_b32 s8, vcc_lo, s8
	s_delay_alu instid0(SALU_CYCLE_1)
	s_or_not1_b32 s8, s8, exec_lo
	s_branch .LBB0_576
.LBB0_581:                              ;   in Loop: Header=BB0_569 Depth=2
	s_or_b32 exec_lo, exec_lo, s21
	v_mov_b32_e32 v21, 0
	s_and_saveexec_b32 s8, s20
	s_delay_alu instid0(SALU_CYCLE_1)
	s_xor_b32 s8, exec_lo, s8
	s_cbranch_execz .LBB0_583
; %bb.582:                              ;   in Loop: Header=BB0_569 Depth=2
	v_mov_b32_e32 v21, 1
	s_wait_loadcnt 0x0
	s_wait_storecnt 0x0
	ds_store_b32 v0, v54
	s_trap 2
.LBB0_583:                              ;   in Loop: Header=BB0_569 Depth=2
	s_or_b32 exec_lo, exec_lo, s8
.LBB0_584:                              ;   in Loop: Header=BB0_569 Depth=2
	s_delay_alu instid0(SALU_CYCLE_1)
	s_or_b32 exec_lo, exec_lo, s19
.LBB0_585:                              ;   in Loop: Header=BB0_569 Depth=2
	s_delay_alu instid0(SALU_CYCLE_1) | instskip(SKIP_3) | instid1(VALU_DEP_2)
	s_or_b32 exec_lo, exec_lo, s18
	s_wait_loadcnt 0x0
	v_lshlrev_b32_e32 v5, 3, v112
	v_and_b32_e32 v119, 0xff, v2
                                        ; implicit-def: $vgpr118
	v_alignbit_b32 v54, v45, v40, v5
	s_delay_alu instid0(VALU_DEP_2) | instskip(SKIP_1) | instid1(SALU_CYCLE_1)
	v_cmp_ne_u16_e32 vcc_lo, 0, v119
	s_and_saveexec_b32 s8, s6
	s_xor_b32 s18, exec_lo, s8
	s_cbranch_execz .LBB0_599
; %bb.586:                              ;   in Loop: Header=BB0_569 Depth=2
	v_dual_mov_b32 v118, 0 :: v_dual_mov_b32 v117, 0
	s_and_saveexec_b32 s19, vcc_lo
	s_cbranch_execz .LBB0_592
; %bb.587:                              ;   in Loop: Header=BB0_569 Depth=2
	v_bfrev_b32_e32 v117, 1
	s_mov_b32 s20, exec_lo
	v_cmpx_ne_u16_e32 0x80, v119
	s_cbranch_execz .LBB0_591
; %bb.588:                              ;   in Loop: Header=BB0_569 Depth=2
	v_and_b32_e32 v119, 0x7f, v2
	v_mov_b32_e32 v117, 0x7f800001
	s_mov_b32 s21, exec_lo
	s_delay_alu instid0(VALU_DEP_2)
	v_cmpx_ne_u32_e32 0x7f, v119
	s_cbranch_execz .LBB0_590
; %bb.589:                              ;   in Loop: Header=BB0_569 Depth=2
	v_dual_lshrrev_b32 v40, 3, v119 :: v_dual_bitop2_b32 v117, 7, v2 bitop3:0x40
	v_cmp_gt_u32_e64 s8, 8, v119
	s_delay_alu instid0(VALU_DEP_2) | instskip(NEXT) | instid1(VALU_DEP_1)
	v_clz_i32_u32_e32 v117, v117
	v_min_u32_e32 v117, 32, v117
	s_delay_alu instid0(VALU_DEP_1) | instskip(SKIP_1) | instid1(VALU_DEP_2)
	v_subrev_nc_u32_e32 v41, 28, v117
	v_sub_nc_u32_e32 v117, 29, v117
	v_cndmask_b32_e64 v119, 0, v41, s8
	s_delay_alu instid0(VALU_DEP_2) | instskip(NEXT) | instid1(VALU_DEP_2)
	v_cndmask_b32_e64 v117, v40, v117, s8
	v_lshlrev_b64_e32 v[40:41], v119, v[2:3]
	v_lshlrev_b32_e32 v119, 24, v2
	s_delay_alu instid0(VALU_DEP_1) | instskip(NEXT) | instid1(VALU_DEP_3)
	v_and_b32_e32 v119, 0x80000000, v119
	v_lshlrev_b32_e32 v40, 20, v40
	v_lshl_add_u32 v117, v117, 23, 0x3c000000
	s_delay_alu instid0(VALU_DEP_2) | instskip(NEXT) | instid1(VALU_DEP_1)
	v_and_b32_e32 v40, 0x700000, v40
	v_or3_b32 v117, v40, v119, v117
.LBB0_590:                              ;   in Loop: Header=BB0_569 Depth=2
	s_or_b32 exec_lo, exec_lo, s21
.LBB0_591:                              ;   in Loop: Header=BB0_569 Depth=2
	s_delay_alu instid0(SALU_CYCLE_1)
	s_or_b32 exec_lo, exec_lo, s20
.LBB0_592:                              ;   in Loop: Header=BB0_569 Depth=2
	s_delay_alu instid0(SALU_CYCLE_1) | instskip(SKIP_2) | instid1(VALU_DEP_1)
	s_or_b32 exec_lo, exec_lo, s19
	v_and_b32_e32 v119, 0xff, v54
	s_mov_b32 s19, exec_lo
	v_cmpx_ne_u16_e32 0, v119
	s_cbranch_execz .LBB0_598
; %bb.593:                              ;   in Loop: Header=BB0_569 Depth=2
	v_bfrev_b32_e32 v118, 1
	s_mov_b32 s20, exec_lo
	v_cmpx_ne_u16_e32 0x80, v119
	s_cbranch_execz .LBB0_597
; %bb.594:                              ;   in Loop: Header=BB0_569 Depth=2
	v_and_b32_e32 v119, 0x7f, v54
	v_mov_b32_e32 v118, 0x7f800001
	s_mov_b32 s21, exec_lo
	s_delay_alu instid0(VALU_DEP_2)
	v_cmpx_ne_u32_e32 0x7f, v119
	s_cbranch_execz .LBB0_596
; %bb.595:                              ;   in Loop: Header=BB0_569 Depth=2
	v_dual_lshrrev_b32 v40, 3, v119 :: v_dual_bitop2_b32 v118, 7, v54 bitop3:0x40
	v_cmp_gt_u32_e64 s8, 8, v119
	s_delay_alu instid0(VALU_DEP_2) | instskip(NEXT) | instid1(VALU_DEP_1)
	v_clz_i32_u32_e32 v118, v118
	v_min_u32_e32 v118, 32, v118
	s_delay_alu instid0(VALU_DEP_1) | instskip(SKIP_1) | instid1(VALU_DEP_1)
	v_subrev_nc_u32_e32 v41, 28, v118
	v_sub_nc_u32_e32 v118, 29, v118
	v_dual_cndmask_b32 v40, v40, v118, s8 :: v_dual_cndmask_b32 v118, 0, v41, s8
	s_delay_alu instid0(VALU_DEP_1) | instskip(NEXT) | instid1(VALU_DEP_2)
	v_lshl_add_u32 v40, v40, 23, 0x3c000000
	v_lshlrev_b64_e32 v[118:119], v118, v[54:55]
	v_lshlrev_b32_e32 v119, 24, v54
	s_delay_alu instid0(VALU_DEP_1) | instskip(NEXT) | instid1(VALU_DEP_3)
	v_and_b32_e32 v119, 0x80000000, v119
	v_lshlrev_b32_e32 v118, 20, v118
	s_delay_alu instid0(VALU_DEP_1) | instskip(NEXT) | instid1(VALU_DEP_1)
	v_and_b32_e32 v118, 0x700000, v118
	v_or3_b32 v118, v118, v119, v40
.LBB0_596:                              ;   in Loop: Header=BB0_569 Depth=2
	s_or_b32 exec_lo, exec_lo, s21
.LBB0_597:                              ;   in Loop: Header=BB0_569 Depth=2
	s_delay_alu instid0(SALU_CYCLE_1)
	s_or_b32 exec_lo, exec_lo, s20
.LBB0_598:                              ;   in Loop: Header=BB0_569 Depth=2
	s_delay_alu instid0(SALU_CYCLE_1) | instskip(NEXT) | instid1(VALU_DEP_1)
	s_or_b32 exec_lo, exec_lo, s19
	v_dual_max_num_f32 v118, v118, v118 :: v_dual_max_num_f32 v117, v117, v117
                                        ; implicit-def: $vgpr119
	s_delay_alu instid0(VALU_DEP_1)
	v_max_num_f32_e32 v118, v117, v118
.LBB0_599:                              ;   in Loop: Header=BB0_569 Depth=2
	s_and_not1_saveexec_b32 s8, s18
	s_cbranch_execz .LBB0_613
; %bb.600:                              ;   in Loop: Header=BB0_569 Depth=2
	v_dual_mov_b32 v118, 0 :: v_dual_mov_b32 v117, 0
	s_and_saveexec_b32 s18, vcc_lo
	s_cbranch_execz .LBB0_606
; %bb.601:                              ;   in Loop: Header=BB0_569 Depth=2
	v_bfrev_b32_e32 v117, 1
	s_mov_b32 s19, exec_lo
	v_cmpx_ne_u16_e32 0x80, v119
	s_cbranch_execz .LBB0_605
; %bb.602:                              ;   in Loop: Header=BB0_569 Depth=2
	v_and_b32_e32 v119, 0x7f, v2
	v_mov_b32_e32 v117, 0x7f800001
	s_mov_b32 s20, exec_lo
	s_delay_alu instid0(VALU_DEP_2)
	v_cmpx_ne_u32_e32 0x7f, v119
	s_cbranch_execz .LBB0_604
; %bb.603:                              ;   in Loop: Header=BB0_569 Depth=2
	v_dual_lshrrev_b32 v40, 3, v119 :: v_dual_bitop2_b32 v117, 7, v2 bitop3:0x40
	v_cmp_gt_u32_e32 vcc_lo, 8, v119
	s_delay_alu instid0(VALU_DEP_2) | instskip(NEXT) | instid1(VALU_DEP_1)
	v_clz_i32_u32_e32 v117, v117
	v_min_u32_e32 v117, 32, v117
	s_delay_alu instid0(VALU_DEP_1) | instskip(SKIP_1) | instid1(VALU_DEP_2)
	v_subrev_nc_u32_e32 v41, 28, v117
	v_sub_nc_u32_e32 v117, 29, v117
	v_cndmask_b32_e32 v119, 0, v41, vcc_lo
	s_delay_alu instid0(VALU_DEP_2) | instskip(NEXT) | instid1(VALU_DEP_2)
	v_cndmask_b32_e32 v117, v40, v117, vcc_lo
	v_lshlrev_b64_e32 v[40:41], v119, v[2:3]
	v_lshlrev_b32_e32 v3, 24, v2
	s_delay_alu instid0(VALU_DEP_1) | instskip(NEXT) | instid1(VALU_DEP_3)
	v_and_b32_e32 v3, 0x80000000, v3
	v_lshlrev_b32_e32 v119, 20, v40
	v_lshl_add_u32 v117, v117, 23, 0x3c000000
	s_delay_alu instid0(VALU_DEP_2) | instskip(NEXT) | instid1(VALU_DEP_1)
	v_and_b32_e32 v119, 0x700000, v119
	v_or3_b32 v117, v119, v3, v117
.LBB0_604:                              ;   in Loop: Header=BB0_569 Depth=2
	s_or_b32 exec_lo, exec_lo, s20
.LBB0_605:                              ;   in Loop: Header=BB0_569 Depth=2
	s_delay_alu instid0(SALU_CYCLE_1)
	s_or_b32 exec_lo, exec_lo, s19
.LBB0_606:                              ;   in Loop: Header=BB0_569 Depth=2
	s_delay_alu instid0(SALU_CYCLE_1) | instskip(SKIP_2) | instid1(VALU_DEP_1)
	s_or_b32 exec_lo, exec_lo, s18
	v_and_b32_e32 v3, 0xff, v54
	s_mov_b32 s18, exec_lo
	v_cmpx_ne_u16_e32 0, v3
	s_cbranch_execz .LBB0_612
; %bb.607:                              ;   in Loop: Header=BB0_569 Depth=2
	v_bfrev_b32_e32 v118, 1
	s_mov_b32 s19, exec_lo
	v_cmpx_ne_u16_e32 0x80, v3
	s_cbranch_execz .LBB0_611
; %bb.608:                              ;   in Loop: Header=BB0_569 Depth=2
	v_and_b32_e32 v3, 0x7f, v54
	v_mov_b32_e32 v118, 0x7f800001
	s_mov_b32 s20, exec_lo
	s_delay_alu instid0(VALU_DEP_2)
	v_cmpx_ne_u32_e32 0x7f, v3
	s_cbranch_execz .LBB0_610
; %bb.609:                              ;   in Loop: Header=BB0_569 Depth=2
	v_dual_lshrrev_b32 v119, 3, v3 :: v_dual_bitop2_b32 v118, 7, v54 bitop3:0x40
	v_cmp_gt_u32_e32 vcc_lo, 8, v3
	s_delay_alu instid0(VALU_DEP_2) | instskip(NEXT) | instid1(VALU_DEP_1)
	v_clz_i32_u32_e32 v118, v118
	v_min_u32_e32 v118, 32, v118
	s_delay_alu instid0(VALU_DEP_1) | instskip(SKIP_1) | instid1(VALU_DEP_1)
	v_subrev_nc_u32_e32 v40, 28, v118
	v_sub_nc_u32_e32 v118, 29, v118
	v_dual_cndmask_b32 v3, v119, v118 :: v_dual_cndmask_b32 v118, 0, v40
	s_delay_alu instid0(VALU_DEP_1) | instskip(NEXT) | instid1(VALU_DEP_2)
	v_lshl_add_u32 v3, v3, 23, 0x3c000000
	v_lshlrev_b64_e32 v[118:119], v118, v[54:55]
	v_lshlrev_b32_e32 v119, 24, v54
	s_delay_alu instid0(VALU_DEP_1) | instskip(NEXT) | instid1(VALU_DEP_3)
	v_and_b32_e32 v119, 0x80000000, v119
	v_lshlrev_b32_e32 v118, 20, v118
	s_delay_alu instid0(VALU_DEP_1) | instskip(NEXT) | instid1(VALU_DEP_1)
	v_and_b32_e32 v118, 0x700000, v118
	v_or3_b32 v118, v118, v119, v3
.LBB0_610:                              ;   in Loop: Header=BB0_569 Depth=2
	s_or_b32 exec_lo, exec_lo, s20
.LBB0_611:                              ;   in Loop: Header=BB0_569 Depth=2
	s_delay_alu instid0(SALU_CYCLE_1)
	s_or_b32 exec_lo, exec_lo, s19
.LBB0_612:                              ;   in Loop: Header=BB0_569 Depth=2
	s_delay_alu instid0(SALU_CYCLE_1) | instskip(NEXT) | instid1(VALU_DEP_1)
	s_or_b32 exec_lo, exec_lo, s18
	v_dual_max_num_f32 v3, v118, v118 :: v_dual_max_num_f32 v117, v117, v117
	s_delay_alu instid0(VALU_DEP_1)
	v_min_num_f32_e32 v118, v117, v3
.LBB0_613:                              ;   in Loop: Header=BB0_569 Depth=2
	s_or_b32 exec_lo, exec_lo, s8
	s_delay_alu instid0(VALU_DEP_1) | instskip(SKIP_2) | instid1(VALU_DEP_1)
	v_and_b32_e32 v40, 0x7f800000, v118
	v_dual_mov_b32 v41, v55 :: v_dual_lshrrev_b32 v3, 24, v118
                                        ; implicit-def: $vgpr117
	s_mov_b32 s8, exec_lo
	v_cmpx_ne_u64_e32 0x7f800000, v[40:41]
	s_xor_b32 s18, exec_lo, s8
	s_cbranch_execz .LBB0_627
; %bb.614:                              ;   in Loop: Header=BB0_569 Depth=2
	v_and_b32_e32 v40, 0x7fffffff, v118
	v_mov_b32_e32 v41, v55
	v_and_b32_e32 v3, 0x80, v3
                                        ; implicit-def: $vgpr117
	s_mov_b32 s8, exec_lo
	s_delay_alu instid0(VALU_DEP_2)
	v_cmpx_gt_u64_e32 0x43e00001, v[40:41]
	s_xor_b32 s19, exec_lo, s8
	s_cbranch_execz .LBB0_624
; %bb.615:                              ;   in Loop: Header=BB0_569 Depth=2
	v_mov_b32_e32 v117, 0
	s_mov_b32 s20, exec_lo
	v_cmpx_ne_u32_e32 0, v118
	s_cbranch_execz .LBB0_623
; %bb.616:                              ;   in Loop: Header=BB0_569 Depth=2
	v_bfe_u32 v117, v118, 23, 8
	v_and_b32_e32 v40, 0x7fffff, v118
	s_mov_b32 s21, exec_lo
	s_delay_alu instid0(VALU_DEP_2) | instskip(NEXT) | instid1(VALU_DEP_2)
	v_cmp_gt_u32_e32 vcc_lo, 0x7a, v117
	v_or_b32_e32 v41, 0x800000, v40
	v_sub_nc_u32_e32 v119, 0x79, v117
	s_delay_alu instid0(VALU_DEP_1) | instskip(SKIP_1) | instid1(VALU_DEP_4)
	v_cndmask_b32_e32 v119, 0, v119, vcc_lo
	v_cmp_eq_u32_e32 vcc_lo, 0, v117
	v_dual_cndmask_b32 v40, v41, v40 :: v_dual_mov_b32 v41, v55
	s_delay_alu instid0(VALU_DEP_3) | instskip(NEXT) | instid1(VALU_DEP_1)
	v_cndmask_b32_e64 v43, v119, 0x78, vcc_lo
	v_dual_add_nc_u32 v118, 20, v43 :: v_dual_add_nc_u32 v46, 19, v43
	s_delay_alu instid0(VALU_DEP_1) | instskip(NEXT) | instid1(VALU_DEP_2)
	v_lshlrev_b64_e64 v[118:119], v118, -1
	v_lshlrev_b64_e64 v[46:47], v46, 1
	s_delay_alu instid0(VALU_DEP_2) | instskip(NEXT) | instid1(VALU_DEP_3)
	v_bfi_b32 v59, v119, 0, 0
	v_bfi_b32 v58, v118, 0, v40
	v_lshrrev_b64 v[118:119], v43, v[40:41]
	s_delay_alu instid0(VALU_DEP_1) | instskip(NEXT) | instid1(VALU_DEP_3)
	v_mov_b64_e32 v[40:41], v[118:119]
	v_cmpx_eq_u64_e64 v[58:59], v[46:47]
; %bb.617:                              ;   in Loop: Header=BB0_569 Depth=2
	v_bfe_u32 v40, v118, 20, 1
	v_mov_b32_e32 v41, v55
	s_delay_alu instid0(VALU_DEP_1) | instskip(NEXT) | instid1(VALU_DEP_1)
	v_add_nc_u64_e32 v[40:41], v[118:119], v[40:41]
	v_add_nc_u64_e32 v[40:41], -1, v[40:41]
; %bb.618:                              ;   in Loop: Header=BB0_569 Depth=2
	s_or_b32 exec_lo, exec_lo, s21
	v_add_nc_u32_e32 v117, 0xffffff81, v117
	v_lshrrev_b32_e32 v119, 23, v118
	s_mov_b32 s8, exec_lo
	s_delay_alu instid0(VALU_DEP_2) | instskip(NEXT) | instid1(VALU_DEP_1)
	v_cndmask_b32_e64 v117, v117, 0xffffff82, vcc_lo
	v_add3_u32 v41, v43, v117, v119
	v_and_b32_e32 v117, 0xfffff, v40
	s_delay_alu instid0(VALU_DEP_2) | instskip(NEXT) | instid1(VALU_DEP_2)
	v_dual_mov_b32 v119, v55 :: v_dual_add_nc_u32 v40, 6, v41
	v_add_nc_u32_e32 v118, v117, v118
                                        ; implicit-def: $vgpr117
	s_delay_alu instid0(VALU_DEP_2)
	v_cmpx_ne_u32_e32 0, v40
	s_xor_b32 s8, exec_lo, s8
; %bb.619:                              ;   in Loop: Header=BB0_569 Depth=2
	s_delay_alu instid0(VALU_DEP_2) | instskip(SKIP_1) | instid1(VALU_DEP_1)
	v_cmp_lt_u64_e32 vcc_lo, 0xffffff, v[118:119]
	v_add_nc_u32_e32 v117, 7, v41
	v_cndmask_b32_e32 v117, v40, v117, vcc_lo
	v_cndmask_b32_e64 v40, 0, 1, vcc_lo
	s_delay_alu instid0(VALU_DEP_1)
	v_lshrrev_b64 v[118:119], v40, v[118:119]
; %bb.620:                              ;   in Loop: Header=BB0_569 Depth=2
	s_and_not1_saveexec_b32 s8, s8
; %bb.621:                              ;   in Loop: Header=BB0_569 Depth=2
	s_delay_alu instid0(VALU_DEP_1)
	v_bfe_u32 v117, v118, 23, 1
; %bb.622:                              ;   in Loop: Header=BB0_569 Depth=2
	s_or_b32 exec_lo, exec_lo, s8
	s_delay_alu instid0(VALU_DEP_2) | instskip(NEXT) | instid1(VALU_DEP_2)
	v_lshrrev_b64 v[118:119], 20, v[118:119]
	v_cmp_gt_i32_e32 vcc_lo, 16, v117
	v_min_i32_e32 v40, 15, v117
	v_cmp_eq_u32_e64 s8, 0, v117
	s_delay_alu instid0(VALU_DEP_2) | instskip(SKIP_1) | instid1(VALU_DEP_2)
	v_dual_cndmask_b32 v119, 0, v119 :: v_dual_lshlrev_b32 v40, 3, v40
	v_cndmask_b32_e32 v118, 7, v118, vcc_lo
	v_and_b32_e32 v40, 0xf8, v40
	s_delay_alu instid0(VALU_DEP_2) | instskip(NEXT) | instid1(VALU_DEP_2)
	v_cmp_eq_u64_e32 vcc_lo, 0, v[118:119]
	v_and_or_b32 v117, v118, 7, v40
	s_and_b32 s8, s8, vcc_lo
	s_delay_alu instid0(VALU_DEP_1) | instid1(SALU_CYCLE_1)
	v_cndmask_b32_e64 v117, v117, 0, s8
	s_delay_alu instid0(VALU_DEP_1)
	v_or_b32_e32 v117, v117, v3
.LBB0_623:                              ;   in Loop: Header=BB0_569 Depth=2
	s_or_b32 exec_lo, exec_lo, s20
                                        ; implicit-def: $vgpr3
.LBB0_624:                              ;   in Loop: Header=BB0_569 Depth=2
	s_and_not1_saveexec_b32 s8, s19
; %bb.625:                              ;   in Loop: Header=BB0_569 Depth=2
	v_or_b32_e32 v117, 0x7e, v3
; %bb.626:                              ;   in Loop: Header=BB0_569 Depth=2
	s_or_b32 exec_lo, exec_lo, s8
                                        ; implicit-def: $vgpr3
.LBB0_627:                              ;   in Loop: Header=BB0_569 Depth=2
	s_and_not1_saveexec_b32 s8, s18
; %bb.628:                              ;   in Loop: Header=BB0_569 Depth=2
	v_or_b32_e32 v117, 0x7f, v3
; %bb.629:                              ;   in Loop: Header=BB0_569 Depth=2
	s_or_b32 exec_lo, exec_lo, s8
	v_lshrrev_b16 v119, 8, v2
	v_lshrrev_b16 v3, 8, v54
                                        ; implicit-def: $vgpr118
	s_delay_alu instid0(VALU_DEP_2) | instskip(SKIP_1) | instid1(SALU_CYCLE_1)
	v_cmp_ne_u16_e32 vcc_lo, 0, v119
	s_and_saveexec_b32 s8, s6
	s_xor_b32 s18, exec_lo, s8
	s_cbranch_execz .LBB0_647
; %bb.630:                              ;   in Loop: Header=BB0_569 Depth=2
	v_dual_mov_b32 v41, 0 :: v_dual_mov_b32 v40, 0
	s_and_saveexec_b32 s19, vcc_lo
	s_cbranch_execz .LBB0_638
; %bb.631:                              ;   in Loop: Header=BB0_569 Depth=2
	v_bfrev_b32_e32 v40, 1
	s_mov_b32 s20, exec_lo
	v_cmpx_ne_u16_e32 0x80, v119
	s_cbranch_execz .LBB0_637
; %bb.632:                              ;   in Loop: Header=BB0_569 Depth=2
	v_and_b32_e32 v118, 0xffff, v119
	v_mov_b32_e32 v40, 0x7f800001
	s_mov_b32 s21, exec_lo
	s_delay_alu instid0(VALU_DEP_2) | instskip(NEXT) | instid1(VALU_DEP_1)
	v_and_b32_e32 v43, 0x7f, v118
	v_cmpx_ne_u32_e32 0x7f, v43
	s_cbranch_execz .LBB0_636
; %bb.633:                              ;   in Loop: Header=BB0_569 Depth=2
	v_dual_mov_b32 v119, v55 :: v_dual_bitop2_b32 v118, 7, v118 bitop3:0x40
	v_lshrrev_b32_e32 v40, 3, v43
	s_mov_b32 s22, exec_lo
	v_cmpx_gt_u32_e32 8, v43
; %bb.634:                              ;   in Loop: Header=BB0_569 Depth=2
	s_delay_alu instid0(VALU_DEP_3) | instskip(NEXT) | instid1(VALU_DEP_1)
	v_clz_i32_u32_e32 v40, v118
	v_min_u32_e32 v40, 32, v40
	s_delay_alu instid0(VALU_DEP_1) | instskip(NEXT) | instid1(VALU_DEP_1)
	v_subrev_nc_u32_e32 v43, 28, v40
	v_lshlrev_b64_e32 v[118:119], v43, v[118:119]
	s_delay_alu instid0(VALU_DEP_1)
	v_dual_sub_nc_u32 v40, 29, v40 :: v_dual_bitop2_b32 v118, 7, v118 bitop3:0x40
; %bb.635:                              ;   in Loop: Header=BB0_569 Depth=2
	s_or_b32 exec_lo, exec_lo, s22
	v_lshlrev_b32_e32 v119, 16, v2
	s_delay_alu instid0(VALU_DEP_2) | instskip(NEXT) | instid1(VALU_DEP_3)
	v_lshlrev_b32_e32 v118, 20, v118
	v_lshl_add_u32 v40, v40, 23, 0x3c000000
	s_delay_alu instid0(VALU_DEP_3) | instskip(NEXT) | instid1(VALU_DEP_1)
	v_and_b32_e32 v119, 0x80000000, v119
	v_or3_b32 v40, v118, v119, v40
.LBB0_636:                              ;   in Loop: Header=BB0_569 Depth=2
	s_or_b32 exec_lo, exec_lo, s21
.LBB0_637:                              ;   in Loop: Header=BB0_569 Depth=2
	s_delay_alu instid0(SALU_CYCLE_1)
	s_or_b32 exec_lo, exec_lo, s20
.LBB0_638:                              ;   in Loop: Header=BB0_569 Depth=2
	s_delay_alu instid0(SALU_CYCLE_1) | instskip(NEXT) | instid1(SALU_CYCLE_1)
	s_or_b32 exec_lo, exec_lo, s19
	s_mov_b32 s19, exec_lo
	v_cmpx_ne_u16_e32 0, v3
	s_cbranch_execz .LBB0_646
; %bb.639:                              ;   in Loop: Header=BB0_569 Depth=2
	v_bfrev_b32_e32 v41, 1
	s_mov_b32 s20, exec_lo
	v_cmpx_ne_u16_e32 0x80, v3
	s_cbranch_execz .LBB0_645
; %bb.640:                              ;   in Loop: Header=BB0_569 Depth=2
	v_and_b32_e32 v3, 0xffff, v3
	v_mov_b32_e32 v41, 0x7f800001
	s_mov_b32 s21, exec_lo
	s_delay_alu instid0(VALU_DEP_2) | instskip(NEXT) | instid1(VALU_DEP_1)
	v_and_b32_e32 v43, 0x7f, v3
	v_cmpx_ne_u32_e32 0x7f, v43
	s_cbranch_execz .LBB0_644
; %bb.641:                              ;   in Loop: Header=BB0_569 Depth=2
	v_dual_mov_b32 v119, v55 :: v_dual_bitop2_b32 v118, 7, v3 bitop3:0x40
	v_lshrrev_b32_e32 v3, 3, v43
	s_mov_b32 s22, exec_lo
	v_cmpx_gt_u32_e32 8, v43
; %bb.642:                              ;   in Loop: Header=BB0_569 Depth=2
	s_delay_alu instid0(VALU_DEP_3) | instskip(NEXT) | instid1(VALU_DEP_1)
	v_clz_i32_u32_e32 v3, v118
	v_min_u32_e32 v3, 32, v3
	s_delay_alu instid0(VALU_DEP_1) | instskip(NEXT) | instid1(VALU_DEP_1)
	v_subrev_nc_u32_e32 v41, 28, v3
	v_lshlrev_b64_e32 v[118:119], v41, v[118:119]
	s_delay_alu instid0(VALU_DEP_1)
	v_dual_sub_nc_u32 v3, 29, v3 :: v_dual_bitop2_b32 v118, 7, v118 bitop3:0x40
; %bb.643:                              ;   in Loop: Header=BB0_569 Depth=2
	s_or_b32 exec_lo, exec_lo, s22
	v_lshlrev_b32_e32 v119, 16, v54
	s_delay_alu instid0(VALU_DEP_2) | instskip(NEXT) | instid1(VALU_DEP_3)
	v_lshlrev_b32_e32 v118, 20, v118
	v_lshl_add_u32 v3, v3, 23, 0x3c000000
	s_delay_alu instid0(VALU_DEP_3) | instskip(NEXT) | instid1(VALU_DEP_1)
	v_and_b32_e32 v119, 0x80000000, v119
	v_or3_b32 v41, v118, v119, v3
.LBB0_644:                              ;   in Loop: Header=BB0_569 Depth=2
	s_or_b32 exec_lo, exec_lo, s21
.LBB0_645:                              ;   in Loop: Header=BB0_569 Depth=2
	s_delay_alu instid0(SALU_CYCLE_1)
	s_or_b32 exec_lo, exec_lo, s20
.LBB0_646:                              ;   in Loop: Header=BB0_569 Depth=2
	s_delay_alu instid0(SALU_CYCLE_1) | instskip(NEXT) | instid1(VALU_DEP_1)
	s_or_b32 exec_lo, exec_lo, s19
	v_dual_max_num_f32 v3, v41, v41 :: v_dual_max_num_f32 v118, v40, v40
                                        ; implicit-def: $vgpr119
	s_delay_alu instid0(VALU_DEP_1)
	v_max_num_f32_e32 v118, v118, v3
                                        ; implicit-def: $vgpr3
.LBB0_647:                              ;   in Loop: Header=BB0_569 Depth=2
	s_and_not1_saveexec_b32 s8, s18
	s_cbranch_execz .LBB0_665
; %bb.648:                              ;   in Loop: Header=BB0_569 Depth=2
	v_dual_mov_b32 v41, 0 :: v_dual_mov_b32 v40, 0
	s_and_saveexec_b32 s18, vcc_lo
	s_cbranch_execz .LBB0_656
; %bb.649:                              ;   in Loop: Header=BB0_569 Depth=2
	v_bfrev_b32_e32 v40, 1
	s_mov_b32 s19, exec_lo
	v_cmpx_ne_u16_e32 0x80, v119
	s_cbranch_execz .LBB0_655
; %bb.650:                              ;   in Loop: Header=BB0_569 Depth=2
	v_and_b32_e32 v118, 0xffff, v119
	v_mov_b32_e32 v40, 0x7f800001
	s_mov_b32 s20, exec_lo
	s_delay_alu instid0(VALU_DEP_2) | instskip(NEXT) | instid1(VALU_DEP_1)
	v_and_b32_e32 v43, 0x7f, v118
	v_cmpx_ne_u32_e32 0x7f, v43
	s_cbranch_execz .LBB0_654
; %bb.651:                              ;   in Loop: Header=BB0_569 Depth=2
	v_dual_mov_b32 v119, v55 :: v_dual_bitop2_b32 v118, 7, v118 bitop3:0x40
	v_lshrrev_b32_e32 v40, 3, v43
	s_mov_b32 s21, exec_lo
	v_cmpx_gt_u32_e32 8, v43
; %bb.652:                              ;   in Loop: Header=BB0_569 Depth=2
	s_delay_alu instid0(VALU_DEP_3) | instskip(NEXT) | instid1(VALU_DEP_1)
	v_clz_i32_u32_e32 v40, v118
	v_min_u32_e32 v40, 32, v40
	s_delay_alu instid0(VALU_DEP_1) | instskip(NEXT) | instid1(VALU_DEP_1)
	v_subrev_nc_u32_e32 v43, 28, v40
	v_lshlrev_b64_e32 v[118:119], v43, v[118:119]
	s_delay_alu instid0(VALU_DEP_1)
	v_dual_sub_nc_u32 v40, 29, v40 :: v_dual_bitop2_b32 v118, 7, v118 bitop3:0x40
; %bb.653:                              ;   in Loop: Header=BB0_569 Depth=2
	s_or_b32 exec_lo, exec_lo, s21
	v_lshlrev_b32_e32 v119, 16, v2
	s_delay_alu instid0(VALU_DEP_2) | instskip(NEXT) | instid1(VALU_DEP_3)
	v_lshlrev_b32_e32 v118, 20, v118
	v_lshl_add_u32 v40, v40, 23, 0x3c000000
	s_delay_alu instid0(VALU_DEP_3) | instskip(NEXT) | instid1(VALU_DEP_1)
	v_and_b32_e32 v119, 0x80000000, v119
	v_or3_b32 v40, v118, v119, v40
.LBB0_654:                              ;   in Loop: Header=BB0_569 Depth=2
	s_or_b32 exec_lo, exec_lo, s20
.LBB0_655:                              ;   in Loop: Header=BB0_569 Depth=2
	s_delay_alu instid0(SALU_CYCLE_1)
	s_or_b32 exec_lo, exec_lo, s19
.LBB0_656:                              ;   in Loop: Header=BB0_569 Depth=2
	s_delay_alu instid0(SALU_CYCLE_1) | instskip(NEXT) | instid1(SALU_CYCLE_1)
	s_or_b32 exec_lo, exec_lo, s18
	s_mov_b32 s18, exec_lo
	v_cmpx_ne_u16_e32 0, v3
	s_cbranch_execz .LBB0_664
; %bb.657:                              ;   in Loop: Header=BB0_569 Depth=2
	v_bfrev_b32_e32 v41, 1
	s_mov_b32 s19, exec_lo
	v_cmpx_ne_u16_e32 0x80, v3
	s_cbranch_execz .LBB0_663
; %bb.658:                              ;   in Loop: Header=BB0_569 Depth=2
	v_and_b32_e32 v3, 0xffff, v3
	v_mov_b32_e32 v41, 0x7f800001
	s_mov_b32 s20, exec_lo
	s_delay_alu instid0(VALU_DEP_2) | instskip(NEXT) | instid1(VALU_DEP_1)
	v_and_b32_e32 v43, 0x7f, v3
	v_cmpx_ne_u32_e32 0x7f, v43
	s_cbranch_execz .LBB0_662
; %bb.659:                              ;   in Loop: Header=BB0_569 Depth=2
	v_dual_mov_b32 v119, v55 :: v_dual_bitop2_b32 v118, 7, v3 bitop3:0x40
	v_lshrrev_b32_e32 v3, 3, v43
	s_mov_b32 s21, exec_lo
	v_cmpx_gt_u32_e32 8, v43
; %bb.660:                              ;   in Loop: Header=BB0_569 Depth=2
	s_delay_alu instid0(VALU_DEP_3) | instskip(NEXT) | instid1(VALU_DEP_1)
	v_clz_i32_u32_e32 v3, v118
	v_min_u32_e32 v3, 32, v3
	s_delay_alu instid0(VALU_DEP_1) | instskip(NEXT) | instid1(VALU_DEP_1)
	v_subrev_nc_u32_e32 v41, 28, v3
	v_lshlrev_b64_e32 v[118:119], v41, v[118:119]
	s_delay_alu instid0(VALU_DEP_1)
	v_dual_sub_nc_u32 v3, 29, v3 :: v_dual_bitop2_b32 v118, 7, v118 bitop3:0x40
; %bb.661:                              ;   in Loop: Header=BB0_569 Depth=2
	s_or_b32 exec_lo, exec_lo, s21
	v_lshlrev_b32_e32 v119, 16, v54
	s_delay_alu instid0(VALU_DEP_2) | instskip(NEXT) | instid1(VALU_DEP_3)
	v_lshlrev_b32_e32 v118, 20, v118
	v_lshl_add_u32 v3, v3, 23, 0x3c000000
	s_delay_alu instid0(VALU_DEP_3) | instskip(NEXT) | instid1(VALU_DEP_1)
	v_and_b32_e32 v119, 0x80000000, v119
	v_or3_b32 v41, v118, v119, v3
.LBB0_662:                              ;   in Loop: Header=BB0_569 Depth=2
	s_or_b32 exec_lo, exec_lo, s20
.LBB0_663:                              ;   in Loop: Header=BB0_569 Depth=2
	s_delay_alu instid0(SALU_CYCLE_1)
	s_or_b32 exec_lo, exec_lo, s19
.LBB0_664:                              ;   in Loop: Header=BB0_569 Depth=2
	s_delay_alu instid0(SALU_CYCLE_1) | instskip(NEXT) | instid1(VALU_DEP_1)
	s_or_b32 exec_lo, exec_lo, s18
	v_dual_max_num_f32 v3, v41, v41 :: v_dual_max_num_f32 v118, v40, v40
	s_delay_alu instid0(VALU_DEP_1)
	v_min_num_f32_e32 v118, v118, v3
.LBB0_665:                              ;   in Loop: Header=BB0_569 Depth=2
	s_or_b32 exec_lo, exec_lo, s8
	s_delay_alu instid0(VALU_DEP_1) | instskip(SKIP_2) | instid1(VALU_DEP_1)
	v_and_b32_e32 v40, 0x7f800000, v118
	v_dual_mov_b32 v41, v55 :: v_dual_lshrrev_b32 v3, 24, v118
                                        ; implicit-def: $vgpr43
	s_mov_b32 s8, exec_lo
	v_cmpx_ne_u64_e32 0x7f800000, v[40:41]
	s_xor_b32 s18, exec_lo, s8
	s_cbranch_execz .LBB0_679
; %bb.666:                              ;   in Loop: Header=BB0_569 Depth=2
	v_and_b32_e32 v40, 0x7fffffff, v118
	v_mov_b32_e32 v41, v55
	v_and_b32_e32 v3, 0x80, v3
                                        ; implicit-def: $vgpr43
	s_mov_b32 s8, exec_lo
	s_delay_alu instid0(VALU_DEP_2)
	v_cmpx_gt_u64_e32 0x43e00001, v[40:41]
	s_xor_b32 s19, exec_lo, s8
	s_cbranch_execz .LBB0_676
; %bb.667:                              ;   in Loop: Header=BB0_569 Depth=2
	v_mov_b32_e32 v43, 0
	s_mov_b32 s20, exec_lo
	v_cmpx_ne_u32_e32 0, v118
	s_cbranch_execz .LBB0_675
; %bb.668:                              ;   in Loop: Header=BB0_569 Depth=2
	v_bfe_u32 v43, v118, 23, 8
	v_and_b32_e32 v40, 0x7fffff, v118
	s_mov_b32 s21, exec_lo
	s_delay_alu instid0(VALU_DEP_2) | instskip(NEXT) | instid1(VALU_DEP_2)
	v_cmp_gt_u32_e32 vcc_lo, 0x7a, v43
	v_or_b32_e32 v41, 0x800000, v40
	v_sub_nc_u32_e32 v119, 0x79, v43
	s_delay_alu instid0(VALU_DEP_1) | instskip(SKIP_1) | instid1(VALU_DEP_2)
	v_cndmask_b32_e32 v119, 0, v119, vcc_lo
	v_cmp_eq_u32_e32 vcc_lo, 0, v43
	v_cndmask_b32_e64 v46, v119, 0x78, vcc_lo
	v_dual_cndmask_b32 v40, v41, v40 :: v_dual_mov_b32 v41, v55
	s_delay_alu instid0(VALU_DEP_2) | instskip(NEXT) | instid1(VALU_DEP_1)
	v_dual_add_nc_u32 v47, 19, v46 :: v_dual_add_nc_u32 v118, 20, v46
	v_lshlrev_b64_e64 v[58:59], v47, 1
	s_delay_alu instid0(VALU_DEP_2) | instskip(NEXT) | instid1(VALU_DEP_1)
	v_lshlrev_b64_e64 v[118:119], v118, -1
	v_bfi_b32 v61, v119, 0, 0
	s_delay_alu instid0(VALU_DEP_2) | instskip(SKIP_1) | instid1(VALU_DEP_1)
	v_bfi_b32 v60, v118, 0, v40
	v_lshrrev_b64 v[118:119], v46, v[40:41]
	v_mov_b64_e32 v[40:41], v[118:119]
	s_delay_alu instid0(VALU_DEP_3)
	v_cmpx_eq_u64_e64 v[60:61], v[58:59]
; %bb.669:                              ;   in Loop: Header=BB0_569 Depth=2
	v_bfe_u32 v40, v118, 20, 1
	v_mov_b32_e32 v41, v55
	s_delay_alu instid0(VALU_DEP_1) | instskip(NEXT) | instid1(VALU_DEP_1)
	v_add_nc_u64_e32 v[40:41], v[118:119], v[40:41]
	v_add_nc_u64_e32 v[40:41], -1, v[40:41]
; %bb.670:                              ;   in Loop: Header=BB0_569 Depth=2
	s_or_b32 exec_lo, exec_lo, s21
	v_add_nc_u32_e32 v119, 0xffffff81, v43
	v_lshrrev_b32_e32 v41, 23, v118
	s_mov_b32 s8, exec_lo
	s_delay_alu instid0(VALU_DEP_2) | instskip(NEXT) | instid1(VALU_DEP_1)
	v_cndmask_b32_e64 v119, v119, 0xffffff82, vcc_lo
	v_add3_u32 v41, v46, v119, v41
	v_and_b32_e32 v119, 0xfffff, v40
                                        ; implicit-def: $vgpr40
	s_delay_alu instid0(VALU_DEP_1) | instskip(SKIP_1) | instid1(VALU_DEP_2)
	v_dual_add_nc_u32 v43, 6, v41 :: v_dual_add_nc_u32 v118, v119, v118
	v_mov_b32_e32 v119, v55
	v_cmpx_ne_u32_e32 0, v43
	s_xor_b32 s8, exec_lo, s8
; %bb.671:                              ;   in Loop: Header=BB0_569 Depth=2
	s_delay_alu instid0(VALU_DEP_2) | instskip(SKIP_2) | instid1(VALU_DEP_2)
	v_cmp_lt_u64_e32 vcc_lo, 0xffffff, v[118:119]
	v_add_nc_u32_e32 v40, 7, v41
	v_cndmask_b32_e64 v41, 0, 1, vcc_lo
	v_cndmask_b32_e32 v40, v43, v40, vcc_lo
	s_delay_alu instid0(VALU_DEP_2)
	v_lshrrev_b64 v[118:119], v41, v[118:119]
; %bb.672:                              ;   in Loop: Header=BB0_569 Depth=2
	s_and_not1_saveexec_b32 s8, s8
; %bb.673:                              ;   in Loop: Header=BB0_569 Depth=2
	s_delay_alu instid0(VALU_DEP_1)
	v_bfe_u32 v40, v118, 23, 1
; %bb.674:                              ;   in Loop: Header=BB0_569 Depth=2
	s_or_b32 exec_lo, exec_lo, s8
	s_delay_alu instid0(VALU_DEP_2) | instskip(NEXT) | instid1(VALU_DEP_2)
	v_lshrrev_b64 v[118:119], 20, v[118:119]
	v_cmp_gt_i32_e32 vcc_lo, 16, v40
	v_min_i32_e32 v41, 15, v40
	v_cmp_eq_u32_e64 s8, 0, v40
	s_delay_alu instid0(VALU_DEP_2) | instskip(SKIP_1) | instid1(VALU_DEP_2)
	v_dual_cndmask_b32 v119, 0, v119, vcc_lo :: v_dual_lshlrev_b32 v41, 3, v41
	v_cndmask_b32_e32 v118, 7, v118, vcc_lo
	v_and_b32_e32 v41, 0xf8, v41
	s_delay_alu instid0(VALU_DEP_2) | instskip(NEXT) | instid1(VALU_DEP_2)
	v_cmp_eq_u64_e32 vcc_lo, 0, v[118:119]
	v_and_or_b32 v118, v118, 7, v41
	s_and_b32 s8, s8, vcc_lo
	s_delay_alu instid0(VALU_DEP_1) | instid1(SALU_CYCLE_1)
	v_cndmask_b32_e64 v118, v118, 0, s8
	s_delay_alu instid0(VALU_DEP_1)
	v_or_b32_e32 v43, v118, v3
.LBB0_675:                              ;   in Loop: Header=BB0_569 Depth=2
	s_or_b32 exec_lo, exec_lo, s20
                                        ; implicit-def: $vgpr3
.LBB0_676:                              ;   in Loop: Header=BB0_569 Depth=2
	s_and_not1_saveexec_b32 s8, s19
; %bb.677:                              ;   in Loop: Header=BB0_569 Depth=2
	v_or_b32_e32 v43, 0x7e, v3
; %bb.678:                              ;   in Loop: Header=BB0_569 Depth=2
	s_or_b32 exec_lo, exec_lo, s8
                                        ; implicit-def: $vgpr3
.LBB0_679:                              ;   in Loop: Header=BB0_569 Depth=2
	s_and_not1_saveexec_b32 s8, s18
; %bb.680:                              ;   in Loop: Header=BB0_569 Depth=2
	v_or_b32_e32 v43, 0x7f, v3
; %bb.681:                              ;   in Loop: Header=BB0_569 Depth=2
	s_or_b32 exec_lo, exec_lo, s8
	v_lshrrev_b32_e32 v40, 16, v2
	v_lshrrev_b32_e32 v3, 16, v54
                                        ; implicit-def: $vgpr118
	s_delay_alu instid0(VALU_DEP_2) | instskip(NEXT) | instid1(VALU_DEP_1)
	v_and_b32_e32 v119, 0xff, v40
	v_cmp_ne_u16_e32 vcc_lo, 0, v119
	s_and_saveexec_b32 s8, s6
	s_delay_alu instid0(SALU_CYCLE_1)
	s_xor_b32 s18, exec_lo, s8
	s_cbranch_execz .LBB0_699
; %bb.682:                              ;   in Loop: Header=BB0_569 Depth=2
	v_dual_mov_b32 v46, 0 :: v_dual_mov_b32 v41, 0
	s_and_saveexec_b32 s19, vcc_lo
	s_cbranch_execz .LBB0_690
; %bb.683:                              ;   in Loop: Header=BB0_569 Depth=2
	v_bfrev_b32_e32 v41, 1
	s_mov_b32 s20, exec_lo
	v_cmpx_ne_u16_e32 0x80, v119
	s_cbranch_execz .LBB0_689
; %bb.684:                              ;   in Loop: Header=BB0_569 Depth=2
	v_bfe_u32 v47, v2, 16, 7
	v_mov_b32_e32 v41, 0x7f800001
	s_mov_b32 s21, exec_lo
	s_delay_alu instid0(VALU_DEP_2)
	v_cmpx_ne_u32_e32 0x7f, v47
	s_cbranch_execz .LBB0_688
; %bb.685:                              ;   in Loop: Header=BB0_569 Depth=2
	v_dual_mov_b32 v119, v55 :: v_dual_bitop2_b32 v118, 7, v40 bitop3:0x40
	v_lshrrev_b32_e32 v41, 3, v47
	s_mov_b32 s22, exec_lo
	v_cmpx_gt_u32_e32 8, v47
; %bb.686:                              ;   in Loop: Header=BB0_569 Depth=2
	s_delay_alu instid0(VALU_DEP_3) | instskip(NEXT) | instid1(VALU_DEP_1)
	v_clz_i32_u32_e32 v41, v118
	v_min_u32_e32 v41, 32, v41
	s_delay_alu instid0(VALU_DEP_1) | instskip(NEXT) | instid1(VALU_DEP_1)
	v_subrev_nc_u32_e32 v47, 28, v41
	v_lshlrev_b64_e32 v[118:119], v47, v[118:119]
	s_delay_alu instid0(VALU_DEP_1)
	v_dual_sub_nc_u32 v41, 29, v41 :: v_dual_bitop2_b32 v118, 7, v118 bitop3:0x40
; %bb.687:                              ;   in Loop: Header=BB0_569 Depth=2
	s_or_b32 exec_lo, exec_lo, s22
	s_delay_alu instid0(VALU_DEP_1) | instskip(NEXT) | instid1(VALU_DEP_2)
	v_dual_lshlrev_b32 v119, 24, v40 :: v_dual_lshlrev_b32 v118, 20, v118
	v_lshl_add_u32 v40, v41, 23, 0x3c000000
	s_delay_alu instid0(VALU_DEP_2) | instskip(NEXT) | instid1(VALU_DEP_1)
	v_and_b32_e32 v119, 0x80000000, v119
	v_or3_b32 v41, v118, v119, v40
.LBB0_688:                              ;   in Loop: Header=BB0_569 Depth=2
	s_or_b32 exec_lo, exec_lo, s21
.LBB0_689:                              ;   in Loop: Header=BB0_569 Depth=2
	s_delay_alu instid0(SALU_CYCLE_1)
	s_or_b32 exec_lo, exec_lo, s20
.LBB0_690:                              ;   in Loop: Header=BB0_569 Depth=2
	s_delay_alu instid0(SALU_CYCLE_1) | instskip(SKIP_2) | instid1(VALU_DEP_1)
	s_or_b32 exec_lo, exec_lo, s19
	v_and_b32_e32 v118, 0xff, v3
	s_mov_b32 s19, exec_lo
	v_cmpx_ne_u16_e32 0, v118
	s_cbranch_execz .LBB0_698
; %bb.691:                              ;   in Loop: Header=BB0_569 Depth=2
	v_bfrev_b32_e32 v46, 1
	s_mov_b32 s20, exec_lo
	v_cmpx_ne_u16_e32 0x80, v118
	s_cbranch_execz .LBB0_697
; %bb.692:                              ;   in Loop: Header=BB0_569 Depth=2
	v_bfe_u32 v47, v54, 16, 7
	v_mov_b32_e32 v46, 0x7f800001
	s_mov_b32 s21, exec_lo
	s_delay_alu instid0(VALU_DEP_2)
	v_cmpx_ne_u32_e32 0x7f, v47
	s_cbranch_execz .LBB0_696
; %bb.693:                              ;   in Loop: Header=BB0_569 Depth=2
	v_dual_mov_b32 v119, v55 :: v_dual_bitop2_b32 v118, 7, v3 bitop3:0x40
	v_lshrrev_b32_e32 v40, 3, v47
	s_mov_b32 s22, exec_lo
	v_cmpx_gt_u32_e32 8, v47
; %bb.694:                              ;   in Loop: Header=BB0_569 Depth=2
	s_delay_alu instid0(VALU_DEP_3) | instskip(NEXT) | instid1(VALU_DEP_1)
	v_clz_i32_u32_e32 v40, v118
	v_min_u32_e32 v40, 32, v40
	s_delay_alu instid0(VALU_DEP_1) | instskip(NEXT) | instid1(VALU_DEP_1)
	v_subrev_nc_u32_e32 v46, 28, v40
	v_lshlrev_b64_e32 v[118:119], v46, v[118:119]
	s_delay_alu instid0(VALU_DEP_1)
	v_dual_sub_nc_u32 v40, 29, v40 :: v_dual_bitop2_b32 v118, 7, v118 bitop3:0x40
; %bb.695:                              ;   in Loop: Header=BB0_569 Depth=2
	s_or_b32 exec_lo, exec_lo, s22
	s_delay_alu instid0(VALU_DEP_1) | instskip(NEXT) | instid1(VALU_DEP_2)
	v_dual_lshlrev_b32 v3, 24, v3 :: v_dual_lshlrev_b32 v118, 20, v118
	v_lshl_add_u32 v119, v40, 23, 0x3c000000
	s_delay_alu instid0(VALU_DEP_2) | instskip(NEXT) | instid1(VALU_DEP_1)
	v_and_b32_e32 v3, 0x80000000, v3
	v_or3_b32 v46, v118, v3, v119
.LBB0_696:                              ;   in Loop: Header=BB0_569 Depth=2
	s_or_b32 exec_lo, exec_lo, s21
.LBB0_697:                              ;   in Loop: Header=BB0_569 Depth=2
	s_delay_alu instid0(SALU_CYCLE_1)
	s_or_b32 exec_lo, exec_lo, s20
.LBB0_698:                              ;   in Loop: Header=BB0_569 Depth=2
	s_delay_alu instid0(SALU_CYCLE_1) | instskip(NEXT) | instid1(VALU_DEP_1)
	s_or_b32 exec_lo, exec_lo, s19
	v_dual_max_num_f32 v3, v46, v46 :: v_dual_max_num_f32 v118, v41, v41
                                        ; implicit-def: $vgpr119
                                        ; implicit-def: $vgpr40
	s_delay_alu instid0(VALU_DEP_1)
	v_max_num_f32_e32 v118, v118, v3
                                        ; implicit-def: $vgpr3
.LBB0_699:                              ;   in Loop: Header=BB0_569 Depth=2
	s_and_not1_saveexec_b32 s8, s18
	s_cbranch_execz .LBB0_717
; %bb.700:                              ;   in Loop: Header=BB0_569 Depth=2
	v_dual_mov_b32 v46, 0 :: v_dual_mov_b32 v41, 0
	s_and_saveexec_b32 s18, vcc_lo
	s_cbranch_execz .LBB0_708
; %bb.701:                              ;   in Loop: Header=BB0_569 Depth=2
	v_bfrev_b32_e32 v41, 1
	s_mov_b32 s19, exec_lo
	v_cmpx_ne_u16_e32 0x80, v119
	s_cbranch_execz .LBB0_707
; %bb.702:                              ;   in Loop: Header=BB0_569 Depth=2
	v_bfe_u32 v47, v2, 16, 7
	v_mov_b32_e32 v41, 0x7f800001
	s_mov_b32 s20, exec_lo
	s_delay_alu instid0(VALU_DEP_2)
	v_cmpx_ne_u32_e32 0x7f, v47
	s_cbranch_execz .LBB0_706
; %bb.703:                              ;   in Loop: Header=BB0_569 Depth=2
	v_dual_mov_b32 v119, v55 :: v_dual_bitop2_b32 v118, 7, v40 bitop3:0x40
	v_lshrrev_b32_e32 v41, 3, v47
	s_mov_b32 s21, exec_lo
	v_cmpx_gt_u32_e32 8, v47
; %bb.704:                              ;   in Loop: Header=BB0_569 Depth=2
	s_delay_alu instid0(VALU_DEP_3) | instskip(NEXT) | instid1(VALU_DEP_1)
	v_clz_i32_u32_e32 v41, v118
	v_min_u32_e32 v41, 32, v41
	s_delay_alu instid0(VALU_DEP_1) | instskip(NEXT) | instid1(VALU_DEP_1)
	v_subrev_nc_u32_e32 v47, 28, v41
	v_lshlrev_b64_e32 v[118:119], v47, v[118:119]
	s_delay_alu instid0(VALU_DEP_1)
	v_dual_sub_nc_u32 v41, 29, v41 :: v_dual_bitop2_b32 v118, 7, v118 bitop3:0x40
; %bb.705:                              ;   in Loop: Header=BB0_569 Depth=2
	s_or_b32 exec_lo, exec_lo, s21
	s_delay_alu instid0(VALU_DEP_1) | instskip(NEXT) | instid1(VALU_DEP_2)
	v_dual_lshlrev_b32 v119, 24, v40 :: v_dual_lshlrev_b32 v118, 20, v118
	v_lshl_add_u32 v40, v41, 23, 0x3c000000
	s_delay_alu instid0(VALU_DEP_2) | instskip(NEXT) | instid1(VALU_DEP_1)
	v_and_b32_e32 v119, 0x80000000, v119
	v_or3_b32 v41, v118, v119, v40
.LBB0_706:                              ;   in Loop: Header=BB0_569 Depth=2
	s_or_b32 exec_lo, exec_lo, s20
.LBB0_707:                              ;   in Loop: Header=BB0_569 Depth=2
	s_delay_alu instid0(SALU_CYCLE_1)
	s_or_b32 exec_lo, exec_lo, s19
.LBB0_708:                              ;   in Loop: Header=BB0_569 Depth=2
	s_delay_alu instid0(SALU_CYCLE_1) | instskip(SKIP_2) | instid1(VALU_DEP_1)
	s_or_b32 exec_lo, exec_lo, s18
	v_and_b32_e32 v118, 0xff, v3
	s_mov_b32 s18, exec_lo
	v_cmpx_ne_u16_e32 0, v118
	s_cbranch_execz .LBB0_716
; %bb.709:                              ;   in Loop: Header=BB0_569 Depth=2
	v_bfrev_b32_e32 v46, 1
	s_mov_b32 s19, exec_lo
	v_cmpx_ne_u16_e32 0x80, v118
	s_cbranch_execz .LBB0_715
; %bb.710:                              ;   in Loop: Header=BB0_569 Depth=2
	v_bfe_u32 v47, v54, 16, 7
	v_mov_b32_e32 v46, 0x7f800001
	s_mov_b32 s20, exec_lo
	s_delay_alu instid0(VALU_DEP_2)
	v_cmpx_ne_u32_e32 0x7f, v47
	s_cbranch_execz .LBB0_714
; %bb.711:                              ;   in Loop: Header=BB0_569 Depth=2
	v_dual_mov_b32 v119, v55 :: v_dual_bitop2_b32 v118, 7, v3 bitop3:0x40
	v_lshrrev_b32_e32 v40, 3, v47
	s_mov_b32 s21, exec_lo
	v_cmpx_gt_u32_e32 8, v47
; %bb.712:                              ;   in Loop: Header=BB0_569 Depth=2
	s_delay_alu instid0(VALU_DEP_3) | instskip(NEXT) | instid1(VALU_DEP_1)
	v_clz_i32_u32_e32 v40, v118
	v_min_u32_e32 v40, 32, v40
	s_delay_alu instid0(VALU_DEP_1) | instskip(NEXT) | instid1(VALU_DEP_1)
	v_subrev_nc_u32_e32 v46, 28, v40
	v_lshlrev_b64_e32 v[118:119], v46, v[118:119]
	s_delay_alu instid0(VALU_DEP_1)
	v_dual_sub_nc_u32 v40, 29, v40 :: v_dual_bitop2_b32 v118, 7, v118 bitop3:0x40
; %bb.713:                              ;   in Loop: Header=BB0_569 Depth=2
	s_or_b32 exec_lo, exec_lo, s21
	s_delay_alu instid0(VALU_DEP_1) | instskip(NEXT) | instid1(VALU_DEP_2)
	v_dual_lshlrev_b32 v3, 24, v3 :: v_dual_lshlrev_b32 v118, 20, v118
	v_lshl_add_u32 v119, v40, 23, 0x3c000000
	s_delay_alu instid0(VALU_DEP_2) | instskip(NEXT) | instid1(VALU_DEP_1)
	v_and_b32_e32 v3, 0x80000000, v3
	v_or3_b32 v46, v118, v3, v119
.LBB0_714:                              ;   in Loop: Header=BB0_569 Depth=2
	s_or_b32 exec_lo, exec_lo, s20
.LBB0_715:                              ;   in Loop: Header=BB0_569 Depth=2
	s_delay_alu instid0(SALU_CYCLE_1)
	s_or_b32 exec_lo, exec_lo, s19
.LBB0_716:                              ;   in Loop: Header=BB0_569 Depth=2
	s_delay_alu instid0(SALU_CYCLE_1) | instskip(NEXT) | instid1(VALU_DEP_1)
	s_or_b32 exec_lo, exec_lo, s18
	v_dual_max_num_f32 v3, v46, v46 :: v_dual_max_num_f32 v118, v41, v41
	s_delay_alu instid0(VALU_DEP_1)
	v_min_num_f32_e32 v118, v118, v3
.LBB0_717:                              ;   in Loop: Header=BB0_569 Depth=2
	s_or_b32 exec_lo, exec_lo, s8
	s_delay_alu instid0(VALU_DEP_1) | instskip(SKIP_1) | instid1(VALU_DEP_1)
	v_and_b32_e32 v40, 0x7f800000, v118
	v_dual_mov_b32 v41, v55 :: v_dual_lshrrev_b32 v3, 24, v118
	v_cmp_ne_u64_e32 vcc_lo, 0x7f800000, v[40:41]
                                        ; implicit-def: $vgpr40
	s_and_saveexec_b32 s8, vcc_lo
	s_delay_alu instid0(SALU_CYCLE_1)
	s_xor_b32 s18, exec_lo, s8
	s_cbranch_execz .LBB0_731
; %bb.718:                              ;   in Loop: Header=BB0_569 Depth=2
	v_and_b32_e32 v40, 0x7fffffff, v118
	v_mov_b32_e32 v41, v55
	v_and_b32_e32 v3, 0x80, v3
	s_delay_alu instid0(VALU_DEP_2) | instskip(SKIP_1) | instid1(SALU_CYCLE_1)
	v_cmp_gt_u64_e32 vcc_lo, 0x43e00001, v[40:41]
                                        ; implicit-def: $vgpr40
	s_and_saveexec_b32 s8, vcc_lo
	s_xor_b32 s19, exec_lo, s8
	s_cbranch_execz .LBB0_728
; %bb.719:                              ;   in Loop: Header=BB0_569 Depth=2
	v_mov_b32_e32 v40, 0
	s_mov_b32 s20, exec_lo
	v_cmpx_ne_u32_e32 0, v118
	s_cbranch_execz .LBB0_727
; %bb.720:                              ;   in Loop: Header=BB0_569 Depth=2
	v_bfe_u32 v46, v118, 23, 8
	v_and_b32_e32 v40, 0x7fffff, v118
	s_mov_b32 s21, exec_lo
	s_delay_alu instid0(VALU_DEP_2) | instskip(NEXT) | instid1(VALU_DEP_2)
	v_cmp_gt_u32_e32 vcc_lo, 0x7a, v46
	v_or_b32_e32 v41, 0x800000, v40
	v_sub_nc_u32_e32 v119, 0x79, v46
	s_delay_alu instid0(VALU_DEP_1) | instskip(SKIP_1) | instid1(VALU_DEP_4)
	v_cndmask_b32_e32 v119, 0, v119, vcc_lo
	v_cmp_eq_u32_e32 vcc_lo, 0, v46
	v_dual_cndmask_b32 v40, v41, v40 :: v_dual_mov_b32 v41, v55
	s_delay_alu instid0(VALU_DEP_3) | instskip(NEXT) | instid1(VALU_DEP_1)
	v_cndmask_b32_e64 v47, v119, 0x78, vcc_lo
	v_dual_add_nc_u32 v118, 20, v47 :: v_dual_add_nc_u32 v58, 19, v47
	s_delay_alu instid0(VALU_DEP_1) | instskip(NEXT) | instid1(VALU_DEP_2)
	v_lshlrev_b64_e64 v[118:119], v118, -1
	v_lshlrev_b64_e64 v[58:59], v58, 1
	s_delay_alu instid0(VALU_DEP_2) | instskip(NEXT) | instid1(VALU_DEP_3)
	v_bfi_b32 v61, v119, 0, 0
	v_bfi_b32 v60, v118, 0, v40
	v_lshrrev_b64 v[118:119], v47, v[40:41]
	s_delay_alu instid0(VALU_DEP_1) | instskip(NEXT) | instid1(VALU_DEP_3)
	v_mov_b64_e32 v[40:41], v[118:119]
	v_cmpx_eq_u64_e64 v[60:61], v[58:59]
; %bb.721:                              ;   in Loop: Header=BB0_569 Depth=2
	v_bfe_u32 v40, v118, 20, 1
	v_mov_b32_e32 v41, v55
	s_delay_alu instid0(VALU_DEP_1) | instskip(NEXT) | instid1(VALU_DEP_1)
	v_add_nc_u64_e32 v[40:41], v[118:119], v[40:41]
	v_add_nc_u64_e32 v[40:41], -1, v[40:41]
; %bb.722:                              ;   in Loop: Header=BB0_569 Depth=2
	s_or_b32 exec_lo, exec_lo, s21
	v_add_nc_u32_e32 v119, 0xffffff81, v46
	v_lshrrev_b32_e32 v41, 23, v118
	s_mov_b32 s8, exec_lo
	s_delay_alu instid0(VALU_DEP_2) | instskip(NEXT) | instid1(VALU_DEP_1)
	v_cndmask_b32_e64 v119, v119, 0xffffff82, vcc_lo
	v_add3_u32 v41, v47, v119, v41
	v_and_b32_e32 v119, 0xfffff, v40
                                        ; implicit-def: $vgpr40
	s_delay_alu instid0(VALU_DEP_1) | instskip(SKIP_1) | instid1(VALU_DEP_2)
	v_dual_add_nc_u32 v46, 6, v41 :: v_dual_add_nc_u32 v118, v119, v118
	v_mov_b32_e32 v119, v55
	v_cmpx_ne_u32_e32 0, v46
	s_xor_b32 s8, exec_lo, s8
; %bb.723:                              ;   in Loop: Header=BB0_569 Depth=2
	s_delay_alu instid0(VALU_DEP_2) | instskip(SKIP_2) | instid1(VALU_DEP_2)
	v_cmp_lt_u64_e32 vcc_lo, 0xffffff, v[118:119]
	v_add_nc_u32_e32 v40, 7, v41
	v_cndmask_b32_e64 v41, 0, 1, vcc_lo
	v_cndmask_b32_e32 v40, v46, v40, vcc_lo
	s_delay_alu instid0(VALU_DEP_2)
	v_lshrrev_b64 v[118:119], v41, v[118:119]
; %bb.724:                              ;   in Loop: Header=BB0_569 Depth=2
	s_and_not1_saveexec_b32 s8, s8
; %bb.725:                              ;   in Loop: Header=BB0_569 Depth=2
	s_delay_alu instid0(VALU_DEP_1)
	v_bfe_u32 v40, v118, 23, 1
; %bb.726:                              ;   in Loop: Header=BB0_569 Depth=2
	s_or_b32 exec_lo, exec_lo, s8
	s_delay_alu instid0(VALU_DEP_2) | instskip(NEXT) | instid1(VALU_DEP_2)
	v_lshrrev_b64 v[118:119], 20, v[118:119]
	v_cmp_gt_i32_e32 vcc_lo, 16, v40
	v_min_i32_e32 v41, 15, v40
	v_cmp_eq_u32_e64 s8, 0, v40
	s_delay_alu instid0(VALU_DEP_2) | instskip(SKIP_1) | instid1(VALU_DEP_2)
	v_dual_cndmask_b32 v119, 0, v119, vcc_lo :: v_dual_lshlrev_b32 v41, 3, v41
	v_cndmask_b32_e32 v118, 7, v118, vcc_lo
	v_and_b32_e32 v41, 0xf8, v41
	s_delay_alu instid0(VALU_DEP_2) | instskip(NEXT) | instid1(VALU_DEP_2)
	v_cmp_eq_u64_e32 vcc_lo, 0, v[118:119]
	v_and_or_b32 v118, v118, 7, v41
	s_and_b32 s8, s8, vcc_lo
	s_delay_alu instid0(VALU_DEP_1) | instid1(SALU_CYCLE_1)
	v_cndmask_b32_e64 v118, v118, 0, s8
	s_delay_alu instid0(VALU_DEP_1)
	v_or_b32_e32 v40, v118, v3
.LBB0_727:                              ;   in Loop: Header=BB0_569 Depth=2
	s_or_b32 exec_lo, exec_lo, s20
                                        ; implicit-def: $vgpr3
.LBB0_728:                              ;   in Loop: Header=BB0_569 Depth=2
	s_and_not1_saveexec_b32 s8, s19
; %bb.729:                              ;   in Loop: Header=BB0_569 Depth=2
	v_or_b32_e32 v40, 0x7e, v3
; %bb.730:                              ;   in Loop: Header=BB0_569 Depth=2
	s_or_b32 exec_lo, exec_lo, s8
                                        ; implicit-def: $vgpr3
.LBB0_731:                              ;   in Loop: Header=BB0_569 Depth=2
	s_and_not1_saveexec_b32 s8, s18
; %bb.732:                              ;   in Loop: Header=BB0_569 Depth=2
	v_or_b32_e32 v40, 0x7f, v3
; %bb.733:                              ;   in Loop: Header=BB0_569 Depth=2
	s_or_b32 exec_lo, exec_lo, s8
	v_lshrrev_b32_e32 v119, 24, v2
	v_lshrrev_b32_e32 v118, 24, v54
	v_cmp_lt_u32_e32 vcc_lo, 0xffffff, v2
                                        ; implicit-def: $vgpr3
	s_and_saveexec_b32 s8, s6
	s_delay_alu instid0(SALU_CYCLE_1)
	s_xor_b32 s18, exec_lo, s8
	s_cbranch_execz .LBB0_751
; %bb.734:                              ;   in Loop: Header=BB0_569 Depth=2
	v_dual_mov_b32 v41, 0 :: v_dual_mov_b32 v3, 0
	s_and_saveexec_b32 s19, vcc_lo
	s_cbranch_execz .LBB0_742
; %bb.735:                              ;   in Loop: Header=BB0_569 Depth=2
	v_bfrev_b32_e32 v3, 1
	s_mov_b32 s20, exec_lo
	v_cmpx_ne_u32_e32 0x80, v119
	s_cbranch_execz .LBB0_741
; %bb.736:                              ;   in Loop: Header=BB0_569 Depth=2
	v_bfe_u32 v47, v2, 24, 7
	v_mov_b32_e32 v3, 0x7f800001
	s_mov_b32 s21, exec_lo
	s_delay_alu instid0(VALU_DEP_2)
	v_cmpx_ne_u32_e32 0x7f, v47
	s_cbranch_execz .LBB0_740
; %bb.737:                              ;   in Loop: Header=BB0_569 Depth=2
	v_dual_mov_b32 v3, v55 :: v_dual_bitop2_b32 v2, 7, v119 bitop3:0x40
	v_lshrrev_b32_e32 v46, 3, v47
	s_mov_b32 s22, exec_lo
	v_cmpx_gt_u32_e32 8, v47
; %bb.738:                              ;   in Loop: Header=BB0_569 Depth=2
	s_delay_alu instid0(VALU_DEP_3) | instskip(NEXT) | instid1(VALU_DEP_1)
	v_clz_i32_u32_e32 v46, v2
	v_min_u32_e32 v46, 32, v46
	s_delay_alu instid0(VALU_DEP_1) | instskip(SKIP_1) | instid1(VALU_DEP_2)
	v_subrev_nc_u32_e32 v47, 28, v46
	v_sub_nc_u32_e32 v46, 29, v46
	v_lshlrev_b64_e32 v[2:3], v47, v[2:3]
	s_delay_alu instid0(VALU_DEP_1)
	v_and_b32_e32 v2, 7, v2
; %bb.739:                              ;   in Loop: Header=BB0_569 Depth=2
	s_or_b32 exec_lo, exec_lo, s22
	s_delay_alu instid0(VALU_DEP_1) | instskip(SKIP_1) | instid1(VALU_DEP_2)
	v_dual_lshlrev_b32 v3, 24, v119 :: v_dual_lshlrev_b32 v2, 20, v2
	v_lshl_add_u32 v119, v46, 23, 0x3c000000
	v_and_b32_e32 v3, 0x80000000, v3
	s_delay_alu instid0(VALU_DEP_1)
	v_or3_b32 v3, v2, v3, v119
.LBB0_740:                              ;   in Loop: Header=BB0_569 Depth=2
	s_or_b32 exec_lo, exec_lo, s21
.LBB0_741:                              ;   in Loop: Header=BB0_569 Depth=2
	s_delay_alu instid0(SALU_CYCLE_1)
	s_or_b32 exec_lo, exec_lo, s20
.LBB0_742:                              ;   in Loop: Header=BB0_569 Depth=2
	s_delay_alu instid0(SALU_CYCLE_1) | instskip(NEXT) | instid1(SALU_CYCLE_1)
	s_or_b32 exec_lo, exec_lo, s19
	s_mov_b32 s19, exec_lo
	v_cmpx_lt_u32_e32 0xffffff, v54
	s_cbranch_execz .LBB0_750
; %bb.743:                              ;   in Loop: Header=BB0_569 Depth=2
	v_bfrev_b32_e32 v41, 1
	s_mov_b32 s20, exec_lo
	v_cmpx_ne_u32_e32 0x80, v118
	s_cbranch_execz .LBB0_749
; %bb.744:                              ;   in Loop: Header=BB0_569 Depth=2
	v_bfe_u32 v119, v54, 24, 7
	v_mov_b32_e32 v41, 0x7f800001
	s_mov_b32 s21, exec_lo
	s_delay_alu instid0(VALU_DEP_2)
	v_cmpx_ne_u32_e32 0x7f, v119
	s_cbranch_execz .LBB0_748
; %bb.745:                              ;   in Loop: Header=BB0_569 Depth=2
	v_dual_lshrrev_b32 v2, 3, v119 :: v_dual_bitop2_b32 v54, 7, v118 bitop3:0x40
	s_mov_b32 s22, exec_lo
	v_cmpx_gt_u32_e32 8, v119
; %bb.746:                              ;   in Loop: Header=BB0_569 Depth=2
	s_delay_alu instid0(VALU_DEP_2) | instskip(NEXT) | instid1(VALU_DEP_1)
	v_clz_i32_u32_e32 v2, v54
	v_min_u32_e32 v2, 32, v2
	s_delay_alu instid0(VALU_DEP_1) | instskip(SKIP_1) | instid1(VALU_DEP_2)
	v_subrev_nc_u32_e32 v119, 28, v2
	v_sub_nc_u32_e32 v2, 29, v2
	v_lshlrev_b64_e32 v[46:47], v119, v[54:55]
	s_delay_alu instid0(VALU_DEP_1)
	v_and_b32_e32 v54, 7, v46
; %bb.747:                              ;   in Loop: Header=BB0_569 Depth=2
	s_or_b32 exec_lo, exec_lo, s22
	v_lshlrev_b32_e32 v118, 24, v118
	s_delay_alu instid0(VALU_DEP_2) | instskip(SKIP_1) | instid1(VALU_DEP_3)
	v_lshlrev_b32_e32 v54, 20, v54
	v_lshl_add_u32 v2, v2, 23, 0x3c000000
	v_and_b32_e32 v118, 0x80000000, v118
	s_delay_alu instid0(VALU_DEP_1)
	v_or3_b32 v41, v54, v118, v2
.LBB0_748:                              ;   in Loop: Header=BB0_569 Depth=2
	s_or_b32 exec_lo, exec_lo, s21
.LBB0_749:                              ;   in Loop: Header=BB0_569 Depth=2
	s_delay_alu instid0(SALU_CYCLE_1)
	s_or_b32 exec_lo, exec_lo, s20
.LBB0_750:                              ;   in Loop: Header=BB0_569 Depth=2
	s_delay_alu instid0(SALU_CYCLE_1) | instskip(NEXT) | instid1(VALU_DEP_1)
	s_or_b32 exec_lo, exec_lo, s19
	v_dual_max_num_f32 v2, v41, v41 :: v_dual_max_num_f32 v3, v3, v3
                                        ; implicit-def: $vgpr118
                                        ; implicit-def: $vgpr119
	s_delay_alu instid0(VALU_DEP_1)
	v_max_num_f32_e32 v3, v3, v2
.LBB0_751:                              ;   in Loop: Header=BB0_569 Depth=2
	s_and_not1_saveexec_b32 s8, s18
	s_cbranch_execz .LBB0_769
; %bb.752:                              ;   in Loop: Header=BB0_569 Depth=2
	v_dual_mov_b32 v41, 0 :: v_dual_mov_b32 v3, 0
	s_and_saveexec_b32 s18, vcc_lo
	s_cbranch_execz .LBB0_760
; %bb.753:                              ;   in Loop: Header=BB0_569 Depth=2
	v_bfrev_b32_e32 v3, 1
	s_mov_b32 s19, exec_lo
	v_cmpx_ne_u32_e32 0x80, v119
	s_cbranch_execz .LBB0_759
; %bb.754:                              ;   in Loop: Header=BB0_569 Depth=2
	v_bfe_u32 v47, v2, 24, 7
	v_mov_b32_e32 v3, 0x7f800001
	s_mov_b32 s20, exec_lo
	s_delay_alu instid0(VALU_DEP_2)
	v_cmpx_ne_u32_e32 0x7f, v47
	s_cbranch_execz .LBB0_758
; %bb.755:                              ;   in Loop: Header=BB0_569 Depth=2
	v_dual_mov_b32 v3, v55 :: v_dual_bitop2_b32 v2, 7, v119 bitop3:0x40
	v_lshrrev_b32_e32 v46, 3, v47
	s_mov_b32 s21, exec_lo
	v_cmpx_gt_u32_e32 8, v47
; %bb.756:                              ;   in Loop: Header=BB0_569 Depth=2
	s_delay_alu instid0(VALU_DEP_3) | instskip(NEXT) | instid1(VALU_DEP_1)
	v_clz_i32_u32_e32 v46, v2
	v_min_u32_e32 v46, 32, v46
	s_delay_alu instid0(VALU_DEP_1) | instskip(SKIP_1) | instid1(VALU_DEP_2)
	v_subrev_nc_u32_e32 v47, 28, v46
	v_sub_nc_u32_e32 v46, 29, v46
	v_lshlrev_b64_e32 v[2:3], v47, v[2:3]
	s_delay_alu instid0(VALU_DEP_1)
	v_and_b32_e32 v2, 7, v2
; %bb.757:                              ;   in Loop: Header=BB0_569 Depth=2
	s_or_b32 exec_lo, exec_lo, s21
	s_delay_alu instid0(VALU_DEP_1) | instskip(SKIP_1) | instid1(VALU_DEP_2)
	v_dual_lshlrev_b32 v3, 24, v119 :: v_dual_lshlrev_b32 v2, 20, v2
	v_lshl_add_u32 v119, v46, 23, 0x3c000000
	v_and_b32_e32 v3, 0x80000000, v3
	s_delay_alu instid0(VALU_DEP_1)
	v_or3_b32 v3, v2, v3, v119
.LBB0_758:                              ;   in Loop: Header=BB0_569 Depth=2
	s_or_b32 exec_lo, exec_lo, s20
.LBB0_759:                              ;   in Loop: Header=BB0_569 Depth=2
	s_delay_alu instid0(SALU_CYCLE_1)
	s_or_b32 exec_lo, exec_lo, s19
.LBB0_760:                              ;   in Loop: Header=BB0_569 Depth=2
	s_delay_alu instid0(SALU_CYCLE_1) | instskip(NEXT) | instid1(SALU_CYCLE_1)
	s_or_b32 exec_lo, exec_lo, s18
	s_mov_b32 s18, exec_lo
	v_cmpx_lt_u32_e32 0xffffff, v54
	s_cbranch_execz .LBB0_768
; %bb.761:                              ;   in Loop: Header=BB0_569 Depth=2
	v_bfrev_b32_e32 v41, 1
	s_mov_b32 s19, exec_lo
	v_cmpx_ne_u32_e32 0x80, v118
	s_cbranch_execz .LBB0_767
; %bb.762:                              ;   in Loop: Header=BB0_569 Depth=2
	v_bfe_u32 v119, v54, 24, 7
	v_mov_b32_e32 v41, 0x7f800001
	s_mov_b32 s20, exec_lo
	s_delay_alu instid0(VALU_DEP_2)
	v_cmpx_ne_u32_e32 0x7f, v119
	s_cbranch_execz .LBB0_766
; %bb.763:                              ;   in Loop: Header=BB0_569 Depth=2
	v_dual_lshrrev_b32 v2, 3, v119 :: v_dual_bitop2_b32 v54, 7, v118 bitop3:0x40
	s_mov_b32 s21, exec_lo
	v_cmpx_gt_u32_e32 8, v119
; %bb.764:                              ;   in Loop: Header=BB0_569 Depth=2
	s_delay_alu instid0(VALU_DEP_2) | instskip(NEXT) | instid1(VALU_DEP_1)
	v_clz_i32_u32_e32 v2, v54
	v_min_u32_e32 v2, 32, v2
	s_delay_alu instid0(VALU_DEP_1) | instskip(SKIP_1) | instid1(VALU_DEP_2)
	v_subrev_nc_u32_e32 v119, 28, v2
	v_sub_nc_u32_e32 v2, 29, v2
	v_lshlrev_b64_e32 v[46:47], v119, v[54:55]
	s_delay_alu instid0(VALU_DEP_1)
	v_and_b32_e32 v54, 7, v46
; %bb.765:                              ;   in Loop: Header=BB0_569 Depth=2
	s_or_b32 exec_lo, exec_lo, s21
	v_lshlrev_b32_e32 v118, 24, v118
	s_delay_alu instid0(VALU_DEP_2) | instskip(SKIP_1) | instid1(VALU_DEP_3)
	v_lshlrev_b32_e32 v54, 20, v54
	v_lshl_add_u32 v2, v2, 23, 0x3c000000
	v_and_b32_e32 v118, 0x80000000, v118
	s_delay_alu instid0(VALU_DEP_1)
	v_or3_b32 v41, v54, v118, v2
.LBB0_766:                              ;   in Loop: Header=BB0_569 Depth=2
	s_or_b32 exec_lo, exec_lo, s20
.LBB0_767:                              ;   in Loop: Header=BB0_569 Depth=2
	s_delay_alu instid0(SALU_CYCLE_1)
	s_or_b32 exec_lo, exec_lo, s19
.LBB0_768:                              ;   in Loop: Header=BB0_569 Depth=2
	s_delay_alu instid0(SALU_CYCLE_1) | instskip(NEXT) | instid1(VALU_DEP_1)
	s_or_b32 exec_lo, exec_lo, s18
	v_dual_max_num_f32 v2, v41, v41 :: v_dual_max_num_f32 v3, v3, v3
	s_delay_alu instid0(VALU_DEP_1)
	v_min_num_f32_e32 v3, v3, v2
.LBB0_769:                              ;   in Loop: Header=BB0_569 Depth=2
	s_or_b32 exec_lo, exec_lo, s8
	s_delay_alu instid0(VALU_DEP_1) | instskip(SKIP_2) | instid1(VALU_DEP_2)
	v_and_b32_e32 v54, 0x7f800000, v3
	v_lshrrev_b32_e32 v2, 24, v3
                                        ; implicit-def: $vgpr41
	s_mov_b32 s8, exec_lo
	v_cmpx_ne_u64_e32 0x7f800000, v[54:55]
	s_xor_b32 s18, exec_lo, s8
	s_cbranch_execz .LBB0_783
; %bb.770:                              ;   in Loop: Header=BB0_569 Depth=2
	v_and_b32_e32 v54, 0x7fffffff, v3
	v_and_b32_e32 v46, 0x80, v2
                                        ; implicit-def: $vgpr41
	s_mov_b32 s8, exec_lo
	s_delay_alu instid0(VALU_DEP_2)
	v_cmpx_gt_u64_e32 0x43e00001, v[54:55]
	s_xor_b32 s19, exec_lo, s8
	s_cbranch_execz .LBB0_780
; %bb.771:                              ;   in Loop: Header=BB0_569 Depth=2
	v_mov_b32_e32 v41, 0
	s_mov_b32 s20, exec_lo
	v_cmpx_ne_u32_e32 0, v3
	s_cbranch_execz .LBB0_779
; %bb.772:                              ;   in Loop: Header=BB0_569 Depth=2
	v_bfe_u32 v41, v3, 23, 8
	v_and_b32_e32 v54, 0x7fffff, v3
	s_delay_alu instid0(VALU_DEP_2) | instskip(SKIP_1) | instid1(VALU_DEP_3)
	v_sub_nc_u32_e32 v2, 0x79, v41
	v_cmp_gt_u32_e32 vcc_lo, 0x7a, v41
	v_or_b32_e32 v118, 0x800000, v54
	s_delay_alu instid0(VALU_DEP_3) | instskip(SKIP_1) | instid1(VALU_DEP_2)
	v_cndmask_b32_e32 v2, 0, v2, vcc_lo
	v_cmp_eq_u32_e32 vcc_lo, 0, v41
	v_cndmask_b32_e64 v47, v2, 0x78, vcc_lo
	s_delay_alu instid0(VALU_DEP_1) | instskip(SKIP_1) | instid1(VALU_DEP_2)
	v_dual_cndmask_b32 v54, v118, v54, vcc_lo :: v_dual_add_nc_u32 v2, 20, v47
	v_add_nc_u32_e32 v119, 19, v47
	v_lshlrev_b64_e64 v[2:3], v2, -1
	s_delay_alu instid0(VALU_DEP_2) | instskip(NEXT) | instid1(VALU_DEP_2)
	v_lshlrev_b64_e64 v[118:119], v119, 1
	v_bfi_b32 v59, v3, 0, 0
	s_delay_alu instid0(VALU_DEP_3) | instskip(SKIP_1) | instid1(VALU_DEP_2)
	v_bfi_b32 v58, v2, 0, v54
	v_lshrrev_b64 v[2:3], v47, v[54:55]
	v_cmp_eq_u64_e64 s8, v[58:59], v[118:119]
	s_delay_alu instid0(VALU_DEP_2)
	v_mov_b64_e32 v[118:119], v[2:3]
	s_and_saveexec_b32 s21, s8
; %bb.773:                              ;   in Loop: Header=BB0_569 Depth=2
	v_bfe_u32 v54, v2, 20, 1
	s_delay_alu instid0(VALU_DEP_1) | instskip(NEXT) | instid1(VALU_DEP_1)
	v_add_nc_u64_e32 v[118:119], v[2:3], v[54:55]
	v_add_nc_u64_e32 v[118:119], -1, v[118:119]
; %bb.774:                              ;   in Loop: Header=BB0_569 Depth=2
	s_or_b32 exec_lo, exec_lo, s21
	v_add_nc_u32_e32 v3, 0xffffff81, v41
	v_lshrrev_b32_e32 v54, 23, v2
	s_mov_b32 s8, exec_lo
	s_delay_alu instid0(VALU_DEP_2) | instskip(NEXT) | instid1(VALU_DEP_1)
	v_cndmask_b32_e64 v3, v3, 0xffffff82, vcc_lo
	v_add3_u32 v119, v47, v3, v54
	v_and_b32_e32 v3, 0xfffff, v118
                                        ; implicit-def: $vgpr118
	s_delay_alu instid0(VALU_DEP_1) | instskip(NEXT) | instid1(VALU_DEP_1)
	v_dual_add_nc_u32 v41, 6, v119 :: v_dual_add_nc_u32 v54, v3, v2
                                        ; implicit-def: $vgpr2_vgpr3
	v_cmpx_ne_u32_e32 0, v41
	s_xor_b32 s8, exec_lo, s8
; %bb.775:                              ;   in Loop: Header=BB0_569 Depth=2
	s_delay_alu instid0(VALU_DEP_2) | instskip(SKIP_1) | instid1(VALU_DEP_1)
	v_cmp_lt_u64_e32 vcc_lo, 0xffffff, v[54:55]
	v_add_nc_u32_e32 v2, 7, v119
	v_cndmask_b32_e32 v118, v41, v2, vcc_lo
	v_cndmask_b32_e64 v2, 0, 1, vcc_lo
	s_delay_alu instid0(VALU_DEP_1)
	v_lshrrev_b64 v[2:3], v2, v[54:55]
; %bb.776:                              ;   in Loop: Header=BB0_569 Depth=2
	s_and_not1_saveexec_b32 s8, s8
; %bb.777:                              ;   in Loop: Header=BB0_569 Depth=2
	v_mov_b64_e32 v[2:3], v[54:55]
	v_bfe_u32 v118, v54, 23, 1
; %bb.778:                              ;   in Loop: Header=BB0_569 Depth=2
	s_or_b32 exec_lo, exec_lo, s8
	s_delay_alu instid0(VALU_DEP_2) | instskip(NEXT) | instid1(VALU_DEP_2)
	v_lshrrev_b64 v[2:3], 20, v[2:3]
	v_cmp_gt_i32_e32 vcc_lo, 16, v118
	v_min_i32_e32 v54, 15, v118
	v_cmp_eq_u32_e64 s8, 0, v118
	s_delay_alu instid0(VALU_DEP_2) | instskip(SKIP_1) | instid1(VALU_DEP_2)
	v_dual_cndmask_b32 v3, 0, v3 :: v_dual_lshlrev_b32 v54, 3, v54
	v_cndmask_b32_e32 v2, 7, v2, vcc_lo
	v_and_b32_e32 v54, 0xf8, v54
	s_delay_alu instid0(VALU_DEP_2) | instskip(NEXT) | instid1(VALU_DEP_2)
	v_cmp_eq_u64_e32 vcc_lo, 0, v[2:3]
	v_and_or_b32 v2, v2, 7, v54
	s_and_b32 s8, s8, vcc_lo
	s_delay_alu instid0(VALU_DEP_1) | instid1(SALU_CYCLE_1)
	v_cndmask_b32_e64 v2, v2, 0, s8
	s_delay_alu instid0(VALU_DEP_1)
	v_or_b32_e32 v41, v2, v46
.LBB0_779:                              ;   in Loop: Header=BB0_569 Depth=2
	s_or_b32 exec_lo, exec_lo, s20
                                        ; implicit-def: $vgpr46
.LBB0_780:                              ;   in Loop: Header=BB0_569 Depth=2
	s_and_not1_saveexec_b32 s8, s19
; %bb.781:                              ;   in Loop: Header=BB0_569 Depth=2
	v_or_b32_e32 v41, 0x7e, v46
; %bb.782:                              ;   in Loop: Header=BB0_569 Depth=2
	s_or_b32 exec_lo, exec_lo, s8
                                        ; implicit-def: $vgpr2
.LBB0_783:                              ;   in Loop: Header=BB0_569 Depth=2
	s_and_not1_saveexec_b32 s8, s18
; %bb.784:                              ;   in Loop: Header=BB0_569 Depth=2
	v_or_b32_e32 v41, 0x7f, v2
; %bb.785:                              ;   in Loop: Header=BB0_569 Depth=2
	s_or_b32 exec_lo, exec_lo, s8
	v_and_b32_e32 v118, 0xff, v4
	v_alignbit_b32 v54, v44, v45, v5
	v_mov_b32_e32 v5, v55
                                        ; implicit-def: $vgpr2
	s_delay_alu instid0(VALU_DEP_3) | instskip(SKIP_1) | instid1(SALU_CYCLE_1)
	v_cmp_ne_u16_e32 vcc_lo, 0, v118
	s_and_saveexec_b32 s8, s6
	s_xor_b32 s18, exec_lo, s8
	s_cbranch_execz .LBB0_799
; %bb.786:                              ;   in Loop: Header=BB0_569 Depth=2
	v_dual_mov_b32 v3, 0 :: v_dual_mov_b32 v2, 0
	s_and_saveexec_b32 s19, vcc_lo
	s_cbranch_execz .LBB0_792
; %bb.787:                              ;   in Loop: Header=BB0_569 Depth=2
	v_bfrev_b32_e32 v2, 1
	s_mov_b32 s20, exec_lo
	v_cmpx_ne_u16_e32 0x80, v118
	s_cbranch_execz .LBB0_791
; %bb.788:                              ;   in Loop: Header=BB0_569 Depth=2
	v_and_b32_e32 v118, 0x7f, v4
	v_mov_b32_e32 v2, 0x7f800001
	s_mov_b32 s21, exec_lo
	s_delay_alu instid0(VALU_DEP_2)
	v_cmpx_ne_u32_e32 0x7f, v118
	s_cbranch_execz .LBB0_790
; %bb.789:                              ;   in Loop: Header=BB0_569 Depth=2
	v_dual_lshrrev_b32 v119, 3, v118 :: v_dual_bitop2_b32 v2, 7, v4 bitop3:0x40
	v_cmp_gt_u32_e64 s8, 8, v118
	s_delay_alu instid0(VALU_DEP_2) | instskip(NEXT) | instid1(VALU_DEP_1)
	v_clz_i32_u32_e32 v2, v2
	v_min_u32_e32 v2, 32, v2
	s_delay_alu instid0(VALU_DEP_1) | instskip(NEXT) | instid1(VALU_DEP_1)
	v_subrev_nc_u32_e32 v44, 28, v2
	v_dual_sub_nc_u32 v2, 29, v2 :: v_dual_cndmask_b32 v118, 0, v44, s8
	s_delay_alu instid0(VALU_DEP_1) | instskip(NEXT) | instid1(VALU_DEP_2)
	v_cndmask_b32_e64 v2, v119, v2, s8
	v_lshlrev_b64_e32 v[118:119], v118, v[4:5]
	v_lshlrev_b32_e32 v5, 24, v4
	s_delay_alu instid0(VALU_DEP_3) | instskip(NEXT) | instid1(VALU_DEP_2)
	v_lshl_add_u32 v2, v2, 23, 0x3c000000
	v_and_b32_e32 v5, 0x80000000, v5
	s_delay_alu instid0(VALU_DEP_4) | instskip(NEXT) | instid1(VALU_DEP_1)
	v_lshlrev_b32_e32 v118, 20, v118
	v_and_b32_e32 v118, 0x700000, v118
	s_delay_alu instid0(VALU_DEP_1)
	v_or3_b32 v2, v118, v5, v2
.LBB0_790:                              ;   in Loop: Header=BB0_569 Depth=2
	s_or_b32 exec_lo, exec_lo, s21
.LBB0_791:                              ;   in Loop: Header=BB0_569 Depth=2
	s_delay_alu instid0(SALU_CYCLE_1)
	s_or_b32 exec_lo, exec_lo, s20
.LBB0_792:                              ;   in Loop: Header=BB0_569 Depth=2
	s_delay_alu instid0(SALU_CYCLE_1) | instskip(SKIP_2) | instid1(VALU_DEP_1)
	s_or_b32 exec_lo, exec_lo, s19
	v_and_b32_e32 v5, 0xff, v54
	s_mov_b32 s19, exec_lo
	v_cmpx_ne_u16_e32 0, v5
	s_cbranch_execz .LBB0_798
; %bb.793:                              ;   in Loop: Header=BB0_569 Depth=2
	v_bfrev_b32_e32 v3, 1
	s_mov_b32 s20, exec_lo
	v_cmpx_ne_u16_e32 0x80, v5
	s_cbranch_execz .LBB0_797
; %bb.794:                              ;   in Loop: Header=BB0_569 Depth=2
	v_and_b32_e32 v5, 0x7f, v54
	v_mov_b32_e32 v3, 0x7f800001
	s_mov_b32 s21, exec_lo
	s_delay_alu instid0(VALU_DEP_2)
	v_cmpx_ne_u32_e32 0x7f, v5
	s_cbranch_execz .LBB0_796
; %bb.795:                              ;   in Loop: Header=BB0_569 Depth=2
	v_dual_lshrrev_b32 v118, 3, v5 :: v_dual_bitop2_b32 v3, 7, v54 bitop3:0x40
	v_cmp_gt_u32_e64 s8, 8, v5
	s_delay_alu instid0(VALU_DEP_2) | instskip(NEXT) | instid1(VALU_DEP_1)
	v_clz_i32_u32_e32 v3, v3
	v_min_u32_e32 v3, 32, v3
	s_delay_alu instid0(VALU_DEP_1) | instskip(SKIP_1) | instid1(VALU_DEP_2)
	v_subrev_nc_u32_e32 v119, 28, v3
	v_sub_nc_u32_e32 v3, 29, v3
	v_cndmask_b32_e64 v5, 0, v119, s8
	s_delay_alu instid0(VALU_DEP_2) | instskip(NEXT) | instid1(VALU_DEP_2)
	v_cndmask_b32_e64 v3, v118, v3, s8
	v_lshlrev_b64_e32 v[118:119], v5, v[54:55]
	v_lshlrev_b32_e32 v5, 24, v54
	s_delay_alu instid0(VALU_DEP_1) | instskip(NEXT) | instid1(VALU_DEP_3)
	v_and_b32_e32 v5, 0x80000000, v5
	v_lshlrev_b32_e32 v118, 20, v118
	v_lshl_add_u32 v3, v3, 23, 0x3c000000
	s_delay_alu instid0(VALU_DEP_2) | instskip(NEXT) | instid1(VALU_DEP_1)
	v_and_b32_e32 v118, 0x700000, v118
	v_or3_b32 v3, v118, v5, v3
.LBB0_796:                              ;   in Loop: Header=BB0_569 Depth=2
	s_or_b32 exec_lo, exec_lo, s21
.LBB0_797:                              ;   in Loop: Header=BB0_569 Depth=2
	s_delay_alu instid0(SALU_CYCLE_1)
	s_or_b32 exec_lo, exec_lo, s20
.LBB0_798:                              ;   in Loop: Header=BB0_569 Depth=2
	s_delay_alu instid0(SALU_CYCLE_1) | instskip(NEXT) | instid1(VALU_DEP_1)
	s_or_b32 exec_lo, exec_lo, s19
	v_dual_max_num_f32 v3, v3, v3 :: v_dual_max_num_f32 v2, v2, v2
                                        ; implicit-def: $vgpr118
	s_delay_alu instid0(VALU_DEP_1)
	v_max_num_f32_e32 v2, v2, v3
.LBB0_799:                              ;   in Loop: Header=BB0_569 Depth=2
	s_and_not1_saveexec_b32 s8, s18
	s_cbranch_execz .LBB0_813
; %bb.800:                              ;   in Loop: Header=BB0_569 Depth=2
	v_dual_mov_b32 v3, 0 :: v_dual_mov_b32 v2, 0
	s_and_saveexec_b32 s18, vcc_lo
	s_cbranch_execz .LBB0_806
; %bb.801:                              ;   in Loop: Header=BB0_569 Depth=2
	v_bfrev_b32_e32 v2, 1
	s_mov_b32 s19, exec_lo
	v_cmpx_ne_u16_e32 0x80, v118
	s_cbranch_execz .LBB0_805
; %bb.802:                              ;   in Loop: Header=BB0_569 Depth=2
	v_and_b32_e32 v118, 0x7f, v4
	v_mov_b32_e32 v2, 0x7f800001
	s_mov_b32 s20, exec_lo
	s_delay_alu instid0(VALU_DEP_2)
	v_cmpx_ne_u32_e32 0x7f, v118
	s_cbranch_execz .LBB0_804
; %bb.803:                              ;   in Loop: Header=BB0_569 Depth=2
	v_dual_lshrrev_b32 v119, 3, v118 :: v_dual_bitop2_b32 v2, 7, v4 bitop3:0x40
	v_cmp_gt_u32_e32 vcc_lo, 8, v118
	s_delay_alu instid0(VALU_DEP_2) | instskip(NEXT) | instid1(VALU_DEP_1)
	v_clz_i32_u32_e32 v2, v2
	v_min_u32_e32 v2, 32, v2
	s_delay_alu instid0(VALU_DEP_1) | instskip(NEXT) | instid1(VALU_DEP_1)
	v_subrev_nc_u32_e32 v44, 28, v2
	v_dual_sub_nc_u32 v2, 29, v2 :: v_dual_cndmask_b32 v118, 0, v44, vcc_lo
	s_delay_alu instid0(VALU_DEP_1) | instskip(NEXT) | instid1(VALU_DEP_2)
	v_cndmask_b32_e32 v2, v119, v2, vcc_lo
	v_lshlrev_b64_e32 v[118:119], v118, v[4:5]
	v_lshlrev_b32_e32 v5, 24, v4
	s_delay_alu instid0(VALU_DEP_3) | instskip(NEXT) | instid1(VALU_DEP_2)
	v_lshl_add_u32 v2, v2, 23, 0x3c000000
	v_and_b32_e32 v5, 0x80000000, v5
	s_delay_alu instid0(VALU_DEP_4) | instskip(NEXT) | instid1(VALU_DEP_1)
	v_lshlrev_b32_e32 v118, 20, v118
	v_and_b32_e32 v118, 0x700000, v118
	s_delay_alu instid0(VALU_DEP_1)
	v_or3_b32 v2, v118, v5, v2
.LBB0_804:                              ;   in Loop: Header=BB0_569 Depth=2
	s_or_b32 exec_lo, exec_lo, s20
.LBB0_805:                              ;   in Loop: Header=BB0_569 Depth=2
	s_delay_alu instid0(SALU_CYCLE_1)
	s_or_b32 exec_lo, exec_lo, s19
.LBB0_806:                              ;   in Loop: Header=BB0_569 Depth=2
	s_delay_alu instid0(SALU_CYCLE_1) | instskip(SKIP_2) | instid1(VALU_DEP_1)
	s_or_b32 exec_lo, exec_lo, s18
	v_and_b32_e32 v5, 0xff, v54
	s_mov_b32 s18, exec_lo
	v_cmpx_ne_u16_e32 0, v5
	s_cbranch_execz .LBB0_812
; %bb.807:                              ;   in Loop: Header=BB0_569 Depth=2
	v_bfrev_b32_e32 v3, 1
	s_mov_b32 s19, exec_lo
	v_cmpx_ne_u16_e32 0x80, v5
	s_cbranch_execz .LBB0_811
; %bb.808:                              ;   in Loop: Header=BB0_569 Depth=2
	v_and_b32_e32 v5, 0x7f, v54
	v_mov_b32_e32 v3, 0x7f800001
	s_mov_b32 s20, exec_lo
	s_delay_alu instid0(VALU_DEP_2)
	v_cmpx_ne_u32_e32 0x7f, v5
	s_cbranch_execz .LBB0_810
; %bb.809:                              ;   in Loop: Header=BB0_569 Depth=2
	v_dual_lshrrev_b32 v118, 3, v5 :: v_dual_bitop2_b32 v3, 7, v54 bitop3:0x40
	v_cmp_gt_u32_e32 vcc_lo, 8, v5
	s_delay_alu instid0(VALU_DEP_2) | instskip(NEXT) | instid1(VALU_DEP_1)
	v_clz_i32_u32_e32 v3, v3
	v_min_u32_e32 v3, 32, v3
	s_delay_alu instid0(VALU_DEP_1) | instskip(SKIP_1) | instid1(VALU_DEP_2)
	v_subrev_nc_u32_e32 v119, 28, v3
	v_sub_nc_u32_e32 v3, 29, v3
	v_cndmask_b32_e32 v5, 0, v119, vcc_lo
	s_delay_alu instid0(VALU_DEP_2) | instskip(NEXT) | instid1(VALU_DEP_2)
	v_cndmask_b32_e32 v3, v118, v3, vcc_lo
	v_lshlrev_b64_e32 v[118:119], v5, v[54:55]
	v_lshlrev_b32_e32 v5, 24, v54
	s_delay_alu instid0(VALU_DEP_1) | instskip(NEXT) | instid1(VALU_DEP_3)
	v_and_b32_e32 v5, 0x80000000, v5
	v_lshlrev_b32_e32 v118, 20, v118
	v_lshl_add_u32 v3, v3, 23, 0x3c000000
	s_delay_alu instid0(VALU_DEP_2) | instskip(NEXT) | instid1(VALU_DEP_1)
	v_and_b32_e32 v118, 0x700000, v118
	v_or3_b32 v3, v118, v5, v3
.LBB0_810:                              ;   in Loop: Header=BB0_569 Depth=2
	s_or_b32 exec_lo, exec_lo, s20
.LBB0_811:                              ;   in Loop: Header=BB0_569 Depth=2
	s_delay_alu instid0(SALU_CYCLE_1)
	s_or_b32 exec_lo, exec_lo, s19
.LBB0_812:                              ;   in Loop: Header=BB0_569 Depth=2
	s_delay_alu instid0(SALU_CYCLE_1) | instskip(NEXT) | instid1(VALU_DEP_1)
	s_or_b32 exec_lo, exec_lo, s18
	v_dual_max_num_f32 v3, v3, v3 :: v_dual_max_num_f32 v2, v2, v2
	s_delay_alu instid0(VALU_DEP_1)
	v_min_num_f32_e32 v2, v2, v3
.LBB0_813:                              ;   in Loop: Header=BB0_569 Depth=2
	s_or_b32 exec_lo, exec_lo, s8
	s_delay_alu instid0(VALU_DEP_1) | instskip(SKIP_2) | instid1(VALU_DEP_1)
	v_and_b32_e32 v118, 0x7f800000, v2
	v_dual_mov_b32 v119, v55 :: v_dual_lshrrev_b32 v3, 24, v2
                                        ; implicit-def: $vgpr44
	s_mov_b32 s8, exec_lo
	v_cmpx_ne_u64_e32 0x7f800000, v[118:119]
	s_xor_b32 s18, exec_lo, s8
	s_cbranch_execz .LBB0_827
; %bb.814:                              ;   in Loop: Header=BB0_569 Depth=2
	v_and_b32_e32 v118, 0x7fffffff, v2
	v_mov_b32_e32 v119, v55
	v_and_b32_e32 v5, 0x80, v3
                                        ; implicit-def: $vgpr44
	s_mov_b32 s8, exec_lo
	s_delay_alu instid0(VALU_DEP_2)
	v_cmpx_gt_u64_e32 0x43e00001, v[118:119]
	s_xor_b32 s19, exec_lo, s8
	s_cbranch_execz .LBB0_824
; %bb.815:                              ;   in Loop: Header=BB0_569 Depth=2
	v_mov_b32_e32 v44, 0
	s_mov_b32 s20, exec_lo
	v_cmpx_ne_u32_e32 0, v2
	s_cbranch_execz .LBB0_823
; %bb.816:                              ;   in Loop: Header=BB0_569 Depth=2
	v_bfe_u32 v44, v2, 23, 8
	v_and_b32_e32 v118, 0x7fffff, v2
	s_mov_b32 s21, exec_lo
	s_delay_alu instid0(VALU_DEP_2) | instskip(NEXT) | instid1(VALU_DEP_2)
	v_cmp_gt_u32_e32 vcc_lo, 0x7a, v44
	v_or_b32_e32 v119, 0x800000, v118
	v_sub_nc_u32_e32 v3, 0x79, v44
	s_delay_alu instid0(VALU_DEP_1) | instskip(SKIP_1) | instid1(VALU_DEP_2)
	v_cndmask_b32_e32 v3, 0, v3, vcc_lo
	v_cmp_eq_u32_e32 vcc_lo, 0, v44
	v_cndmask_b32_e64 v45, v3, 0x78, vcc_lo
	v_cndmask_b32_e32 v118, v119, v118, vcc_lo
	s_delay_alu instid0(VALU_DEP_2) | instskip(SKIP_1) | instid1(VALU_DEP_2)
	v_dual_mov_b32 v119, v55 :: v_dual_add_nc_u32 v46, 19, v45
	v_add_nc_u32_e32 v2, 20, v45
	v_lshlrev_b64_e64 v[46:47], v46, 1
	s_delay_alu instid0(VALU_DEP_2) | instskip(NEXT) | instid1(VALU_DEP_1)
	v_lshlrev_b64_e64 v[2:3], v2, -1
	v_bfi_b32 v59, v3, 0, 0
	s_delay_alu instid0(VALU_DEP_2) | instskip(SKIP_1) | instid1(VALU_DEP_1)
	v_bfi_b32 v58, v2, 0, v118
	v_lshrrev_b64 v[2:3], v45, v[118:119]
	v_mov_b64_e32 v[118:119], v[2:3]
	s_delay_alu instid0(VALU_DEP_3)
	v_cmpx_eq_u64_e64 v[58:59], v[46:47]
; %bb.817:                              ;   in Loop: Header=BB0_569 Depth=2
	v_bfe_u32 v118, v2, 20, 1
	v_mov_b32_e32 v119, v55
	s_delay_alu instid0(VALU_DEP_1) | instskip(NEXT) | instid1(VALU_DEP_1)
	v_add_nc_u64_e32 v[118:119], v[2:3], v[118:119]
	v_add_nc_u64_e32 v[118:119], -1, v[118:119]
; %bb.818:                              ;   in Loop: Header=BB0_569 Depth=2
	s_or_b32 exec_lo, exec_lo, s21
	v_add_nc_u32_e32 v3, 0xffffff81, v44
	v_lshrrev_b32_e32 v119, 23, v2
	s_mov_b32 s8, exec_lo
	s_delay_alu instid0(VALU_DEP_2) | instskip(NEXT) | instid1(VALU_DEP_1)
	v_cndmask_b32_e64 v3, v3, 0xffffff82, vcc_lo
	v_add3_u32 v119, v45, v3, v119
	v_and_b32_e32 v3, 0xfffff, v118
                                        ; implicit-def: $vgpr118
	s_delay_alu instid0(VALU_DEP_1) | instskip(SKIP_1) | instid1(VALU_DEP_2)
	v_dual_add_nc_u32 v44, 6, v119 :: v_dual_add_nc_u32 v2, v3, v2
	v_mov_b32_e32 v3, v55
	v_cmpx_ne_u32_e32 0, v44
	s_xor_b32 s8, exec_lo, s8
; %bb.819:                              ;   in Loop: Header=BB0_569 Depth=2
	s_delay_alu instid0(VALU_DEP_2) | instskip(SKIP_2) | instid1(VALU_DEP_2)
	v_cmp_lt_u64_e32 vcc_lo, 0xffffff, v[2:3]
	v_add_nc_u32_e32 v118, 7, v119
	v_cndmask_b32_e64 v119, 0, 1, vcc_lo
	v_cndmask_b32_e32 v118, v44, v118, vcc_lo
	s_delay_alu instid0(VALU_DEP_2)
	v_lshrrev_b64 v[2:3], v119, v[2:3]
; %bb.820:                              ;   in Loop: Header=BB0_569 Depth=2
	s_and_not1_saveexec_b32 s8, s8
; %bb.821:                              ;   in Loop: Header=BB0_569 Depth=2
	s_delay_alu instid0(VALU_DEP_1)
	v_bfe_u32 v118, v2, 23, 1
; %bb.822:                              ;   in Loop: Header=BB0_569 Depth=2
	s_or_b32 exec_lo, exec_lo, s8
	s_delay_alu instid0(VALU_DEP_2) | instskip(NEXT) | instid1(VALU_DEP_2)
	v_lshrrev_b64 v[2:3], 20, v[2:3]
	v_cmp_gt_i32_e32 vcc_lo, 16, v118
	v_min_i32_e32 v119, 15, v118
	v_cmp_eq_u32_e64 s8, 0, v118
	s_delay_alu instid0(VALU_DEP_4) | instskip(NEXT) | instid1(VALU_DEP_3)
	v_cndmask_b32_e32 v3, 0, v3, vcc_lo
	v_dual_cndmask_b32 v2, 7, v2 :: v_dual_lshlrev_b32 v119, 3, v119
	s_delay_alu instid0(VALU_DEP_1) | instskip(NEXT) | instid1(VALU_DEP_2)
	v_and_b32_e32 v119, 0xf8, v119
	v_cmp_eq_u64_e32 vcc_lo, 0, v[2:3]
	s_delay_alu instid0(VALU_DEP_2)
	v_and_or_b32 v2, v2, 7, v119
	s_and_b32 s8, s8, vcc_lo
	s_delay_alu instid0(VALU_DEP_1) | instid1(SALU_CYCLE_1)
	v_cndmask_b32_e64 v2, v2, 0, s8
	s_delay_alu instid0(VALU_DEP_1)
	v_or_b32_e32 v44, v2, v5
.LBB0_823:                              ;   in Loop: Header=BB0_569 Depth=2
	s_or_b32 exec_lo, exec_lo, s20
                                        ; implicit-def: $vgpr5
.LBB0_824:                              ;   in Loop: Header=BB0_569 Depth=2
	s_and_not1_saveexec_b32 s8, s19
; %bb.825:                              ;   in Loop: Header=BB0_569 Depth=2
	v_or_b32_e32 v44, 0x7e, v5
; %bb.826:                              ;   in Loop: Header=BB0_569 Depth=2
	s_or_b32 exec_lo, exec_lo, s8
                                        ; implicit-def: $vgpr3
.LBB0_827:                              ;   in Loop: Header=BB0_569 Depth=2
	s_and_not1_saveexec_b32 s8, s18
; %bb.828:                              ;   in Loop: Header=BB0_569 Depth=2
	v_or_b32_e32 v44, 0x7f, v3
; %bb.829:                              ;   in Loop: Header=BB0_569 Depth=2
	s_or_b32 exec_lo, exec_lo, s8
	v_lshrrev_b16 v3, 8, v4
	v_lshrrev_b16 v5, 8, v54
                                        ; implicit-def: $vgpr2
	s_delay_alu instid0(VALU_DEP_2) | instskip(SKIP_1) | instid1(SALU_CYCLE_1)
	v_cmp_ne_u16_e32 vcc_lo, 0, v3
	s_and_saveexec_b32 s8, s6
	s_xor_b32 s18, exec_lo, s8
	s_cbranch_execz .LBB0_847
; %bb.830:                              ;   in Loop: Header=BB0_569 Depth=2
	v_dual_mov_b32 v119, 0 :: v_dual_mov_b32 v118, 0
	s_and_saveexec_b32 s19, vcc_lo
	s_cbranch_execz .LBB0_838
; %bb.831:                              ;   in Loop: Header=BB0_569 Depth=2
	v_bfrev_b32_e32 v118, 1
	s_mov_b32 s20, exec_lo
	v_cmpx_ne_u16_e32 0x80, v3
	s_cbranch_execz .LBB0_837
; %bb.832:                              ;   in Loop: Header=BB0_569 Depth=2
	v_and_b32_e32 v2, 0xffff, v3
	v_mov_b32_e32 v118, 0x7f800001
	s_mov_b32 s21, exec_lo
	s_delay_alu instid0(VALU_DEP_2) | instskip(NEXT) | instid1(VALU_DEP_1)
	v_and_b32_e32 v45, 0x7f, v2
	v_cmpx_ne_u32_e32 0x7f, v45
	s_cbranch_execz .LBB0_836
; %bb.833:                              ;   in Loop: Header=BB0_569 Depth=2
	v_dual_mov_b32 v3, v55 :: v_dual_bitop2_b32 v2, 7, v2 bitop3:0x40
	v_lshrrev_b32_e32 v118, 3, v45
	s_mov_b32 s22, exec_lo
	v_cmpx_gt_u32_e32 8, v45
; %bb.834:                              ;   in Loop: Header=BB0_569 Depth=2
	s_delay_alu instid0(VALU_DEP_3) | instskip(NEXT) | instid1(VALU_DEP_1)
	v_clz_i32_u32_e32 v118, v2
	v_min_u32_e32 v118, 32, v118
	s_delay_alu instid0(VALU_DEP_1) | instskip(SKIP_1) | instid1(VALU_DEP_2)
	v_subrev_nc_u32_e32 v45, 28, v118
	v_sub_nc_u32_e32 v118, 29, v118
	v_lshlrev_b64_e32 v[2:3], v45, v[2:3]
	s_delay_alu instid0(VALU_DEP_1)
	v_and_b32_e32 v2, 7, v2
; %bb.835:                              ;   in Loop: Header=BB0_569 Depth=2
	s_or_b32 exec_lo, exec_lo, s22
	s_delay_alu instid0(VALU_DEP_1) | instskip(SKIP_1) | instid1(VALU_DEP_2)
	v_dual_lshlrev_b32 v3, 16, v4 :: v_dual_lshlrev_b32 v2, 20, v2
	v_lshl_add_u32 v118, v118, 23, 0x3c000000
	v_and_b32_e32 v3, 0x80000000, v3
	s_delay_alu instid0(VALU_DEP_1)
	v_or3_b32 v118, v2, v3, v118
.LBB0_836:                              ;   in Loop: Header=BB0_569 Depth=2
	s_or_b32 exec_lo, exec_lo, s21
.LBB0_837:                              ;   in Loop: Header=BB0_569 Depth=2
	s_delay_alu instid0(SALU_CYCLE_1)
	s_or_b32 exec_lo, exec_lo, s20
.LBB0_838:                              ;   in Loop: Header=BB0_569 Depth=2
	s_delay_alu instid0(SALU_CYCLE_1) | instskip(NEXT) | instid1(SALU_CYCLE_1)
	s_or_b32 exec_lo, exec_lo, s19
	s_mov_b32 s19, exec_lo
	v_cmpx_ne_u16_e32 0, v5
	s_cbranch_execz .LBB0_846
; %bb.839:                              ;   in Loop: Header=BB0_569 Depth=2
	v_bfrev_b32_e32 v119, 1
	s_mov_b32 s20, exec_lo
	v_cmpx_ne_u16_e32 0x80, v5
	s_cbranch_execz .LBB0_845
; %bb.840:                              ;   in Loop: Header=BB0_569 Depth=2
	v_and_b32_e32 v2, 0xffff, v5
	v_mov_b32_e32 v119, 0x7f800001
	s_mov_b32 s21, exec_lo
	s_delay_alu instid0(VALU_DEP_2) | instskip(NEXT) | instid1(VALU_DEP_1)
	v_and_b32_e32 v45, 0x7f, v2
	v_cmpx_ne_u32_e32 0x7f, v45
	s_cbranch_execz .LBB0_844
; %bb.841:                              ;   in Loop: Header=BB0_569 Depth=2
	v_dual_mov_b32 v3, v55 :: v_dual_bitop2_b32 v2, 7, v2 bitop3:0x40
	v_lshrrev_b32_e32 v5, 3, v45
	s_mov_b32 s22, exec_lo
	v_cmpx_gt_u32_e32 8, v45
; %bb.842:                              ;   in Loop: Header=BB0_569 Depth=2
	s_delay_alu instid0(VALU_DEP_3) | instskip(NEXT) | instid1(VALU_DEP_1)
	v_clz_i32_u32_e32 v5, v2
	v_min_u32_e32 v5, 32, v5
	s_delay_alu instid0(VALU_DEP_1) | instskip(NEXT) | instid1(VALU_DEP_1)
	v_subrev_nc_u32_e32 v119, 28, v5
	v_lshlrev_b64_e32 v[2:3], v119, v[2:3]
	s_delay_alu instid0(VALU_DEP_1)
	v_dual_sub_nc_u32 v5, 29, v5 :: v_dual_bitop2_b32 v2, 7, v2 bitop3:0x40
; %bb.843:                              ;   in Loop: Header=BB0_569 Depth=2
	s_or_b32 exec_lo, exec_lo, s22
	v_lshlrev_b32_e32 v3, 16, v54
	s_delay_alu instid0(VALU_DEP_2) | instskip(NEXT) | instid1(VALU_DEP_3)
	v_lshlrev_b32_e32 v2, 20, v2
	v_lshl_add_u32 v5, v5, 23, 0x3c000000
	s_delay_alu instid0(VALU_DEP_3) | instskip(NEXT) | instid1(VALU_DEP_1)
	v_and_b32_e32 v3, 0x80000000, v3
	v_or3_b32 v119, v2, v3, v5
.LBB0_844:                              ;   in Loop: Header=BB0_569 Depth=2
	s_or_b32 exec_lo, exec_lo, s21
.LBB0_845:                              ;   in Loop: Header=BB0_569 Depth=2
	s_delay_alu instid0(SALU_CYCLE_1)
	s_or_b32 exec_lo, exec_lo, s20
.LBB0_846:                              ;   in Loop: Header=BB0_569 Depth=2
	s_delay_alu instid0(SALU_CYCLE_1) | instskip(NEXT) | instid1(VALU_DEP_1)
	s_or_b32 exec_lo, exec_lo, s19
	v_dual_max_num_f32 v2, v119, v119 :: v_dual_max_num_f32 v3, v118, v118
                                        ; implicit-def: $vgpr5
	s_delay_alu instid0(VALU_DEP_1)
	v_max_num_f32_e32 v2, v3, v2
                                        ; implicit-def: $vgpr3
.LBB0_847:                              ;   in Loop: Header=BB0_569 Depth=2
	s_and_not1_saveexec_b32 s8, s18
	s_cbranch_execz .LBB0_865
; %bb.848:                              ;   in Loop: Header=BB0_569 Depth=2
	v_dual_mov_b32 v119, 0 :: v_dual_mov_b32 v118, 0
	s_and_saveexec_b32 s18, vcc_lo
	s_cbranch_execz .LBB0_856
; %bb.849:                              ;   in Loop: Header=BB0_569 Depth=2
	v_bfrev_b32_e32 v118, 1
	s_mov_b32 s19, exec_lo
	v_cmpx_ne_u16_e32 0x80, v3
	s_cbranch_execz .LBB0_855
; %bb.850:                              ;   in Loop: Header=BB0_569 Depth=2
	v_and_b32_e32 v2, 0xffff, v3
	v_mov_b32_e32 v118, 0x7f800001
	s_mov_b32 s20, exec_lo
	s_delay_alu instid0(VALU_DEP_2) | instskip(NEXT) | instid1(VALU_DEP_1)
	v_and_b32_e32 v45, 0x7f, v2
	v_cmpx_ne_u32_e32 0x7f, v45
	s_cbranch_execz .LBB0_854
; %bb.851:                              ;   in Loop: Header=BB0_569 Depth=2
	v_dual_mov_b32 v3, v55 :: v_dual_bitop2_b32 v2, 7, v2 bitop3:0x40
	v_lshrrev_b32_e32 v118, 3, v45
	s_mov_b32 s21, exec_lo
	v_cmpx_gt_u32_e32 8, v45
; %bb.852:                              ;   in Loop: Header=BB0_569 Depth=2
	s_delay_alu instid0(VALU_DEP_3) | instskip(NEXT) | instid1(VALU_DEP_1)
	v_clz_i32_u32_e32 v118, v2
	v_min_u32_e32 v118, 32, v118
	s_delay_alu instid0(VALU_DEP_1) | instskip(SKIP_1) | instid1(VALU_DEP_2)
	v_subrev_nc_u32_e32 v45, 28, v118
	v_sub_nc_u32_e32 v118, 29, v118
	v_lshlrev_b64_e32 v[2:3], v45, v[2:3]
	s_delay_alu instid0(VALU_DEP_1)
	v_and_b32_e32 v2, 7, v2
; %bb.853:                              ;   in Loop: Header=BB0_569 Depth=2
	s_or_b32 exec_lo, exec_lo, s21
	s_delay_alu instid0(VALU_DEP_1) | instskip(SKIP_1) | instid1(VALU_DEP_2)
	v_dual_lshlrev_b32 v3, 16, v4 :: v_dual_lshlrev_b32 v2, 20, v2
	v_lshl_add_u32 v118, v118, 23, 0x3c000000
	v_and_b32_e32 v3, 0x80000000, v3
	s_delay_alu instid0(VALU_DEP_1)
	v_or3_b32 v118, v2, v3, v118
.LBB0_854:                              ;   in Loop: Header=BB0_569 Depth=2
	s_or_b32 exec_lo, exec_lo, s20
.LBB0_855:                              ;   in Loop: Header=BB0_569 Depth=2
	s_delay_alu instid0(SALU_CYCLE_1)
	s_or_b32 exec_lo, exec_lo, s19
.LBB0_856:                              ;   in Loop: Header=BB0_569 Depth=2
	s_delay_alu instid0(SALU_CYCLE_1) | instskip(NEXT) | instid1(SALU_CYCLE_1)
	s_or_b32 exec_lo, exec_lo, s18
	s_mov_b32 s18, exec_lo
	v_cmpx_ne_u16_e32 0, v5
	s_cbranch_execz .LBB0_864
; %bb.857:                              ;   in Loop: Header=BB0_569 Depth=2
	v_bfrev_b32_e32 v119, 1
	s_mov_b32 s19, exec_lo
	v_cmpx_ne_u16_e32 0x80, v5
	s_cbranch_execz .LBB0_863
; %bb.858:                              ;   in Loop: Header=BB0_569 Depth=2
	v_and_b32_e32 v2, 0xffff, v5
	v_mov_b32_e32 v119, 0x7f800001
	s_mov_b32 s20, exec_lo
	s_delay_alu instid0(VALU_DEP_2) | instskip(NEXT) | instid1(VALU_DEP_1)
	v_and_b32_e32 v45, 0x7f, v2
	v_cmpx_ne_u32_e32 0x7f, v45
	s_cbranch_execz .LBB0_862
; %bb.859:                              ;   in Loop: Header=BB0_569 Depth=2
	v_dual_mov_b32 v3, v55 :: v_dual_bitop2_b32 v2, 7, v2 bitop3:0x40
	v_lshrrev_b32_e32 v5, 3, v45
	s_mov_b32 s21, exec_lo
	v_cmpx_gt_u32_e32 8, v45
; %bb.860:                              ;   in Loop: Header=BB0_569 Depth=2
	s_delay_alu instid0(VALU_DEP_3) | instskip(NEXT) | instid1(VALU_DEP_1)
	v_clz_i32_u32_e32 v5, v2
	v_min_u32_e32 v5, 32, v5
	s_delay_alu instid0(VALU_DEP_1) | instskip(NEXT) | instid1(VALU_DEP_1)
	v_subrev_nc_u32_e32 v119, 28, v5
	v_lshlrev_b64_e32 v[2:3], v119, v[2:3]
	s_delay_alu instid0(VALU_DEP_1)
	v_dual_sub_nc_u32 v5, 29, v5 :: v_dual_bitop2_b32 v2, 7, v2 bitop3:0x40
; %bb.861:                              ;   in Loop: Header=BB0_569 Depth=2
	s_or_b32 exec_lo, exec_lo, s21
	v_lshlrev_b32_e32 v3, 16, v54
	s_delay_alu instid0(VALU_DEP_2) | instskip(NEXT) | instid1(VALU_DEP_3)
	v_lshlrev_b32_e32 v2, 20, v2
	v_lshl_add_u32 v5, v5, 23, 0x3c000000
	s_delay_alu instid0(VALU_DEP_3) | instskip(NEXT) | instid1(VALU_DEP_1)
	v_and_b32_e32 v3, 0x80000000, v3
	v_or3_b32 v119, v2, v3, v5
.LBB0_862:                              ;   in Loop: Header=BB0_569 Depth=2
	s_or_b32 exec_lo, exec_lo, s20
.LBB0_863:                              ;   in Loop: Header=BB0_569 Depth=2
	s_delay_alu instid0(SALU_CYCLE_1)
	s_or_b32 exec_lo, exec_lo, s19
.LBB0_864:                              ;   in Loop: Header=BB0_569 Depth=2
	s_delay_alu instid0(SALU_CYCLE_1) | instskip(NEXT) | instid1(VALU_DEP_1)
	s_or_b32 exec_lo, exec_lo, s18
	v_dual_max_num_f32 v2, v119, v119 :: v_dual_max_num_f32 v3, v118, v118
	s_delay_alu instid0(VALU_DEP_1)
	v_min_num_f32_e32 v2, v3, v2
.LBB0_865:                              ;   in Loop: Header=BB0_569 Depth=2
	s_or_b32 exec_lo, exec_lo, s8
	s_delay_alu instid0(VALU_DEP_1) | instskip(SKIP_2) | instid1(VALU_DEP_1)
	v_and_b32_e32 v118, 0x7f800000, v2
	v_dual_mov_b32 v119, v55 :: v_dual_lshrrev_b32 v3, 24, v2
                                        ; implicit-def: $vgpr45
	s_mov_b32 s8, exec_lo
	v_cmpx_ne_u64_e32 0x7f800000, v[118:119]
	s_xor_b32 s18, exec_lo, s8
	s_cbranch_execz .LBB0_879
; %bb.866:                              ;   in Loop: Header=BB0_569 Depth=2
	v_and_b32_e32 v118, 0x7fffffff, v2
	v_mov_b32_e32 v119, v55
	v_and_b32_e32 v5, 0x80, v3
                                        ; implicit-def: $vgpr45
	s_mov_b32 s8, exec_lo
	s_delay_alu instid0(VALU_DEP_2)
	v_cmpx_gt_u64_e32 0x43e00001, v[118:119]
	s_xor_b32 s19, exec_lo, s8
	s_cbranch_execz .LBB0_876
; %bb.867:                              ;   in Loop: Header=BB0_569 Depth=2
	v_mov_b32_e32 v45, 0
	s_mov_b32 s20, exec_lo
	v_cmpx_ne_u32_e32 0, v2
	s_cbranch_execz .LBB0_875
; %bb.868:                              ;   in Loop: Header=BB0_569 Depth=2
	v_bfe_u32 v45, v2, 23, 8
	v_and_b32_e32 v118, 0x7fffff, v2
	s_mov_b32 s21, exec_lo
	s_delay_alu instid0(VALU_DEP_2) | instskip(NEXT) | instid1(VALU_DEP_2)
	v_cmp_gt_u32_e32 vcc_lo, 0x7a, v45
	v_or_b32_e32 v119, 0x800000, v118
	v_sub_nc_u32_e32 v3, 0x79, v45
	s_delay_alu instid0(VALU_DEP_1) | instskip(SKIP_1) | instid1(VALU_DEP_2)
	v_cndmask_b32_e32 v3, 0, v3, vcc_lo
	v_cmp_eq_u32_e32 vcc_lo, 0, v45
	v_cndmask_b32_e64 v46, v3, 0x78, vcc_lo
	v_cndmask_b32_e32 v118, v119, v118, vcc_lo
	s_delay_alu instid0(VALU_DEP_2) | instskip(SKIP_1) | instid1(VALU_DEP_2)
	v_dual_mov_b32 v119, v55 :: v_dual_add_nc_u32 v47, 19, v46
	v_add_nc_u32_e32 v2, 20, v46
	v_lshlrev_b64_e64 v[58:59], v47, 1
	s_delay_alu instid0(VALU_DEP_2) | instskip(NEXT) | instid1(VALU_DEP_1)
	v_lshlrev_b64_e64 v[2:3], v2, -1
	v_bfi_b32 v61, v3, 0, 0
	s_delay_alu instid0(VALU_DEP_2) | instskip(SKIP_1) | instid1(VALU_DEP_1)
	v_bfi_b32 v60, v2, 0, v118
	v_lshrrev_b64 v[2:3], v46, v[118:119]
	v_mov_b64_e32 v[118:119], v[2:3]
	s_delay_alu instid0(VALU_DEP_3)
	v_cmpx_eq_u64_e64 v[60:61], v[58:59]
; %bb.869:                              ;   in Loop: Header=BB0_569 Depth=2
	v_bfe_u32 v118, v2, 20, 1
	v_mov_b32_e32 v119, v55
	s_delay_alu instid0(VALU_DEP_1) | instskip(NEXT) | instid1(VALU_DEP_1)
	v_add_nc_u64_e32 v[118:119], v[2:3], v[118:119]
	v_add_nc_u64_e32 v[118:119], -1, v[118:119]
; %bb.870:                              ;   in Loop: Header=BB0_569 Depth=2
	s_or_b32 exec_lo, exec_lo, s21
	v_add_nc_u32_e32 v3, 0xffffff81, v45
	v_lshrrev_b32_e32 v119, 23, v2
	s_mov_b32 s8, exec_lo
	s_delay_alu instid0(VALU_DEP_2) | instskip(NEXT) | instid1(VALU_DEP_1)
	v_cndmask_b32_e64 v3, v3, 0xffffff82, vcc_lo
	v_add3_u32 v119, v46, v3, v119
	v_and_b32_e32 v3, 0xfffff, v118
                                        ; implicit-def: $vgpr118
	s_delay_alu instid0(VALU_DEP_1) | instskip(SKIP_1) | instid1(VALU_DEP_2)
	v_dual_add_nc_u32 v45, 6, v119 :: v_dual_add_nc_u32 v2, v3, v2
	v_mov_b32_e32 v3, v55
	v_cmpx_ne_u32_e32 0, v45
	s_xor_b32 s8, exec_lo, s8
; %bb.871:                              ;   in Loop: Header=BB0_569 Depth=2
	s_delay_alu instid0(VALU_DEP_2) | instskip(SKIP_2) | instid1(VALU_DEP_2)
	v_cmp_lt_u64_e32 vcc_lo, 0xffffff, v[2:3]
	v_add_nc_u32_e32 v118, 7, v119
	v_cndmask_b32_e64 v119, 0, 1, vcc_lo
	v_cndmask_b32_e32 v118, v45, v118, vcc_lo
	s_delay_alu instid0(VALU_DEP_2)
	v_lshrrev_b64 v[2:3], v119, v[2:3]
; %bb.872:                              ;   in Loop: Header=BB0_569 Depth=2
	s_and_not1_saveexec_b32 s8, s8
; %bb.873:                              ;   in Loop: Header=BB0_569 Depth=2
	s_delay_alu instid0(VALU_DEP_1)
	v_bfe_u32 v118, v2, 23, 1
; %bb.874:                              ;   in Loop: Header=BB0_569 Depth=2
	s_or_b32 exec_lo, exec_lo, s8
	s_delay_alu instid0(VALU_DEP_2) | instskip(NEXT) | instid1(VALU_DEP_2)
	v_lshrrev_b64 v[2:3], 20, v[2:3]
	v_cmp_gt_i32_e32 vcc_lo, 16, v118
	v_min_i32_e32 v119, 15, v118
	v_cmp_eq_u32_e64 s8, 0, v118
	s_delay_alu instid0(VALU_DEP_4) | instskip(NEXT) | instid1(VALU_DEP_3)
	v_cndmask_b32_e32 v3, 0, v3, vcc_lo
	v_dual_cndmask_b32 v2, 7, v2 :: v_dual_lshlrev_b32 v119, 3, v119
	s_delay_alu instid0(VALU_DEP_1) | instskip(NEXT) | instid1(VALU_DEP_2)
	v_and_b32_e32 v119, 0xf8, v119
	v_cmp_eq_u64_e32 vcc_lo, 0, v[2:3]
	s_delay_alu instid0(VALU_DEP_2)
	v_and_or_b32 v2, v2, 7, v119
	s_and_b32 s8, s8, vcc_lo
	s_delay_alu instid0(VALU_DEP_1) | instid1(SALU_CYCLE_1)
	v_cndmask_b32_e64 v2, v2, 0, s8
	s_delay_alu instid0(VALU_DEP_1)
	v_or_b32_e32 v45, v2, v5
.LBB0_875:                              ;   in Loop: Header=BB0_569 Depth=2
	s_or_b32 exec_lo, exec_lo, s20
                                        ; implicit-def: $vgpr5
.LBB0_876:                              ;   in Loop: Header=BB0_569 Depth=2
	s_and_not1_saveexec_b32 s8, s19
; %bb.877:                              ;   in Loop: Header=BB0_569 Depth=2
	v_or_b32_e32 v45, 0x7e, v5
; %bb.878:                              ;   in Loop: Header=BB0_569 Depth=2
	s_or_b32 exec_lo, exec_lo, s8
                                        ; implicit-def: $vgpr3
.LBB0_879:                              ;   in Loop: Header=BB0_569 Depth=2
	s_and_not1_saveexec_b32 s8, s18
; %bb.880:                              ;   in Loop: Header=BB0_569 Depth=2
	v_or_b32_e32 v45, 0x7f, v3
; %bb.881:                              ;   in Loop: Header=BB0_569 Depth=2
	s_or_b32 exec_lo, exec_lo, s8
	v_dual_lshrrev_b32 v118, 16, v4 :: v_dual_lshrrev_b32 v5, 16, v54
                                        ; implicit-def: $vgpr2
	s_delay_alu instid0(VALU_DEP_1) | instskip(NEXT) | instid1(VALU_DEP_1)
	v_and_b32_e32 v3, 0xff, v118
	v_cmp_ne_u16_e32 vcc_lo, 0, v3
	s_and_saveexec_b32 s8, s6
	s_delay_alu instid0(SALU_CYCLE_1)
	s_xor_b32 s18, exec_lo, s8
	s_cbranch_execz .LBB0_899
; %bb.882:                              ;   in Loop: Header=BB0_569 Depth=2
	v_dual_mov_b32 v46, 0 :: v_dual_mov_b32 v119, 0
	s_and_saveexec_b32 s19, vcc_lo
	s_cbranch_execz .LBB0_890
; %bb.883:                              ;   in Loop: Header=BB0_569 Depth=2
	v_bfrev_b32_e32 v119, 1
	s_mov_b32 s20, exec_lo
	v_cmpx_ne_u16_e32 0x80, v3
	s_cbranch_execz .LBB0_889
; %bb.884:                              ;   in Loop: Header=BB0_569 Depth=2
	v_bfe_u32 v47, v4, 16, 7
	v_mov_b32_e32 v119, 0x7f800001
	s_mov_b32 s21, exec_lo
	s_delay_alu instid0(VALU_DEP_2)
	v_cmpx_ne_u32_e32 0x7f, v47
	s_cbranch_execz .LBB0_888
; %bb.885:                              ;   in Loop: Header=BB0_569 Depth=2
	v_dual_mov_b32 v3, v55 :: v_dual_bitop2_b32 v2, 7, v118 bitop3:0x40
	v_lshrrev_b32_e32 v119, 3, v47
	s_mov_b32 s22, exec_lo
	v_cmpx_gt_u32_e32 8, v47
; %bb.886:                              ;   in Loop: Header=BB0_569 Depth=2
	s_delay_alu instid0(VALU_DEP_3) | instskip(NEXT) | instid1(VALU_DEP_1)
	v_clz_i32_u32_e32 v119, v2
	v_min_u32_e32 v119, 32, v119
	s_delay_alu instid0(VALU_DEP_1) | instskip(NEXT) | instid1(VALU_DEP_1)
	v_subrev_nc_u32_e32 v47, 28, v119
	v_lshlrev_b64_e32 v[2:3], v47, v[2:3]
	s_delay_alu instid0(VALU_DEP_1)
	v_dual_sub_nc_u32 v119, 29, v119 :: v_dual_bitop2_b32 v2, 7, v2 bitop3:0x40
; %bb.887:                              ;   in Loop: Header=BB0_569 Depth=2
	s_or_b32 exec_lo, exec_lo, s22
	v_lshlrev_b32_e32 v3, 24, v118
	s_delay_alu instid0(VALU_DEP_2) | instskip(NEXT) | instid1(VALU_DEP_3)
	v_lshlrev_b32_e32 v2, 20, v2
	v_lshl_add_u32 v118, v119, 23, 0x3c000000
	s_delay_alu instid0(VALU_DEP_3) | instskip(NEXT) | instid1(VALU_DEP_1)
	v_and_b32_e32 v3, 0x80000000, v3
	v_or3_b32 v119, v2, v3, v118
.LBB0_888:                              ;   in Loop: Header=BB0_569 Depth=2
	s_or_b32 exec_lo, exec_lo, s21
.LBB0_889:                              ;   in Loop: Header=BB0_569 Depth=2
	s_delay_alu instid0(SALU_CYCLE_1)
	s_or_b32 exec_lo, exec_lo, s20
.LBB0_890:                              ;   in Loop: Header=BB0_569 Depth=2
	s_delay_alu instid0(SALU_CYCLE_1) | instskip(SKIP_2) | instid1(VALU_DEP_1)
	s_or_b32 exec_lo, exec_lo, s19
	v_and_b32_e32 v2, 0xff, v5
	s_mov_b32 s19, exec_lo
	v_cmpx_ne_u16_e32 0, v2
	s_cbranch_execz .LBB0_898
; %bb.891:                              ;   in Loop: Header=BB0_569 Depth=2
	v_bfrev_b32_e32 v46, 1
	s_mov_b32 s20, exec_lo
	v_cmpx_ne_u16_e32 0x80, v2
	s_cbranch_execz .LBB0_897
; %bb.892:                              ;   in Loop: Header=BB0_569 Depth=2
	v_bfe_u32 v47, v54, 16, 7
	v_mov_b32_e32 v46, 0x7f800001
	s_mov_b32 s21, exec_lo
	s_delay_alu instid0(VALU_DEP_2)
	v_cmpx_ne_u32_e32 0x7f, v47
	s_cbranch_execz .LBB0_896
; %bb.893:                              ;   in Loop: Header=BB0_569 Depth=2
	v_dual_mov_b32 v3, v55 :: v_dual_bitop2_b32 v2, 7, v5 bitop3:0x40
	v_lshrrev_b32_e32 v118, 3, v47
	s_mov_b32 s22, exec_lo
	v_cmpx_gt_u32_e32 8, v47
; %bb.894:                              ;   in Loop: Header=BB0_569 Depth=2
	s_delay_alu instid0(VALU_DEP_3) | instskip(NEXT) | instid1(VALU_DEP_1)
	v_clz_i32_u32_e32 v118, v2
	v_min_u32_e32 v118, 32, v118
	s_delay_alu instid0(VALU_DEP_1) | instskip(SKIP_1) | instid1(VALU_DEP_2)
	v_subrev_nc_u32_e32 v46, 28, v118
	v_sub_nc_u32_e32 v118, 29, v118
	v_lshlrev_b64_e32 v[2:3], v46, v[2:3]
	s_delay_alu instid0(VALU_DEP_1)
	v_and_b32_e32 v2, 7, v2
; %bb.895:                              ;   in Loop: Header=BB0_569 Depth=2
	s_or_b32 exec_lo, exec_lo, s22
	s_delay_alu instid0(VALU_DEP_1) | instskip(SKIP_1) | instid1(VALU_DEP_2)
	v_dual_lshlrev_b32 v3, 24, v5 :: v_dual_lshlrev_b32 v2, 20, v2
	v_lshl_add_u32 v5, v118, 23, 0x3c000000
	v_and_b32_e32 v3, 0x80000000, v3
	s_delay_alu instid0(VALU_DEP_1)
	v_or3_b32 v46, v2, v3, v5
.LBB0_896:                              ;   in Loop: Header=BB0_569 Depth=2
	s_or_b32 exec_lo, exec_lo, s21
.LBB0_897:                              ;   in Loop: Header=BB0_569 Depth=2
	s_delay_alu instid0(SALU_CYCLE_1)
	s_or_b32 exec_lo, exec_lo, s20
.LBB0_898:                              ;   in Loop: Header=BB0_569 Depth=2
	s_delay_alu instid0(SALU_CYCLE_1) | instskip(NEXT) | instid1(VALU_DEP_1)
	s_or_b32 exec_lo, exec_lo, s19
	v_dual_max_num_f32 v2, v46, v46 :: v_dual_max_num_f32 v3, v119, v119
                                        ; implicit-def: $vgpr5
                                        ; implicit-def: $vgpr118
	s_delay_alu instid0(VALU_DEP_1)
	v_max_num_f32_e32 v2, v3, v2
                                        ; implicit-def: $vgpr3
.LBB0_899:                              ;   in Loop: Header=BB0_569 Depth=2
	s_and_not1_saveexec_b32 s8, s18
	s_cbranch_execz .LBB0_917
; %bb.900:                              ;   in Loop: Header=BB0_569 Depth=2
	v_dual_mov_b32 v46, 0 :: v_dual_mov_b32 v119, 0
	s_and_saveexec_b32 s18, vcc_lo
	s_cbranch_execz .LBB0_908
; %bb.901:                              ;   in Loop: Header=BB0_569 Depth=2
	v_bfrev_b32_e32 v119, 1
	s_mov_b32 s19, exec_lo
	v_cmpx_ne_u16_e32 0x80, v3
	s_cbranch_execz .LBB0_907
; %bb.902:                              ;   in Loop: Header=BB0_569 Depth=2
	v_bfe_u32 v47, v4, 16, 7
	v_mov_b32_e32 v119, 0x7f800001
	s_mov_b32 s20, exec_lo
	s_delay_alu instid0(VALU_DEP_2)
	v_cmpx_ne_u32_e32 0x7f, v47
	s_cbranch_execz .LBB0_906
; %bb.903:                              ;   in Loop: Header=BB0_569 Depth=2
	v_dual_mov_b32 v3, v55 :: v_dual_bitop2_b32 v2, 7, v118 bitop3:0x40
	v_lshrrev_b32_e32 v119, 3, v47
	s_mov_b32 s21, exec_lo
	v_cmpx_gt_u32_e32 8, v47
; %bb.904:                              ;   in Loop: Header=BB0_569 Depth=2
	s_delay_alu instid0(VALU_DEP_3) | instskip(NEXT) | instid1(VALU_DEP_1)
	v_clz_i32_u32_e32 v119, v2
	v_min_u32_e32 v119, 32, v119
	s_delay_alu instid0(VALU_DEP_1) | instskip(NEXT) | instid1(VALU_DEP_1)
	v_subrev_nc_u32_e32 v47, 28, v119
	v_lshlrev_b64_e32 v[2:3], v47, v[2:3]
	s_delay_alu instid0(VALU_DEP_1)
	v_dual_sub_nc_u32 v119, 29, v119 :: v_dual_bitop2_b32 v2, 7, v2 bitop3:0x40
; %bb.905:                              ;   in Loop: Header=BB0_569 Depth=2
	s_or_b32 exec_lo, exec_lo, s21
	v_lshlrev_b32_e32 v3, 24, v118
	s_delay_alu instid0(VALU_DEP_2) | instskip(NEXT) | instid1(VALU_DEP_3)
	v_lshlrev_b32_e32 v2, 20, v2
	v_lshl_add_u32 v118, v119, 23, 0x3c000000
	s_delay_alu instid0(VALU_DEP_3) | instskip(NEXT) | instid1(VALU_DEP_1)
	v_and_b32_e32 v3, 0x80000000, v3
	v_or3_b32 v119, v2, v3, v118
.LBB0_906:                              ;   in Loop: Header=BB0_569 Depth=2
	s_or_b32 exec_lo, exec_lo, s20
.LBB0_907:                              ;   in Loop: Header=BB0_569 Depth=2
	s_delay_alu instid0(SALU_CYCLE_1)
	s_or_b32 exec_lo, exec_lo, s19
.LBB0_908:                              ;   in Loop: Header=BB0_569 Depth=2
	s_delay_alu instid0(SALU_CYCLE_1) | instskip(SKIP_2) | instid1(VALU_DEP_1)
	s_or_b32 exec_lo, exec_lo, s18
	v_and_b32_e32 v2, 0xff, v5
	s_mov_b32 s18, exec_lo
	v_cmpx_ne_u16_e32 0, v2
	s_cbranch_execz .LBB0_916
; %bb.909:                              ;   in Loop: Header=BB0_569 Depth=2
	v_bfrev_b32_e32 v46, 1
	s_mov_b32 s19, exec_lo
	v_cmpx_ne_u16_e32 0x80, v2
	s_cbranch_execz .LBB0_915
; %bb.910:                              ;   in Loop: Header=BB0_569 Depth=2
	v_bfe_u32 v47, v54, 16, 7
	v_mov_b32_e32 v46, 0x7f800001
	s_mov_b32 s20, exec_lo
	s_delay_alu instid0(VALU_DEP_2)
	v_cmpx_ne_u32_e32 0x7f, v47
	s_cbranch_execz .LBB0_914
; %bb.911:                              ;   in Loop: Header=BB0_569 Depth=2
	v_dual_mov_b32 v3, v55 :: v_dual_bitop2_b32 v2, 7, v5 bitop3:0x40
	v_lshrrev_b32_e32 v118, 3, v47
	s_mov_b32 s21, exec_lo
	v_cmpx_gt_u32_e32 8, v47
; %bb.912:                              ;   in Loop: Header=BB0_569 Depth=2
	s_delay_alu instid0(VALU_DEP_3) | instskip(NEXT) | instid1(VALU_DEP_1)
	v_clz_i32_u32_e32 v118, v2
	v_min_u32_e32 v118, 32, v118
	s_delay_alu instid0(VALU_DEP_1) | instskip(SKIP_1) | instid1(VALU_DEP_2)
	v_subrev_nc_u32_e32 v46, 28, v118
	v_sub_nc_u32_e32 v118, 29, v118
	v_lshlrev_b64_e32 v[2:3], v46, v[2:3]
	s_delay_alu instid0(VALU_DEP_1)
	v_and_b32_e32 v2, 7, v2
; %bb.913:                              ;   in Loop: Header=BB0_569 Depth=2
	s_or_b32 exec_lo, exec_lo, s21
	s_delay_alu instid0(VALU_DEP_1) | instskip(SKIP_1) | instid1(VALU_DEP_2)
	v_dual_lshlrev_b32 v3, 24, v5 :: v_dual_lshlrev_b32 v2, 20, v2
	v_lshl_add_u32 v5, v118, 23, 0x3c000000
	v_and_b32_e32 v3, 0x80000000, v3
	s_delay_alu instid0(VALU_DEP_1)
	v_or3_b32 v46, v2, v3, v5
.LBB0_914:                              ;   in Loop: Header=BB0_569 Depth=2
	s_or_b32 exec_lo, exec_lo, s20
.LBB0_915:                              ;   in Loop: Header=BB0_569 Depth=2
	s_delay_alu instid0(SALU_CYCLE_1)
	s_or_b32 exec_lo, exec_lo, s19
.LBB0_916:                              ;   in Loop: Header=BB0_569 Depth=2
	s_delay_alu instid0(SALU_CYCLE_1) | instskip(NEXT) | instid1(VALU_DEP_1)
	s_or_b32 exec_lo, exec_lo, s18
	v_dual_max_num_f32 v2, v46, v46 :: v_dual_max_num_f32 v3, v119, v119
	s_delay_alu instid0(VALU_DEP_1)
	v_min_num_f32_e32 v2, v3, v2
.LBB0_917:                              ;   in Loop: Header=BB0_569 Depth=2
	s_or_b32 exec_lo, exec_lo, s8
	s_delay_alu instid0(VALU_DEP_1) | instskip(SKIP_1) | instid1(VALU_DEP_1)
	v_and_b32_e32 v118, 0x7f800000, v2
	v_dual_mov_b32 v119, v55 :: v_dual_lshrrev_b32 v3, 24, v2
	v_cmp_ne_u64_e32 vcc_lo, 0x7f800000, v[118:119]
                                        ; implicit-def: $vgpr118
	s_and_saveexec_b32 s8, vcc_lo
	s_delay_alu instid0(SALU_CYCLE_1)
	s_xor_b32 s18, exec_lo, s8
	s_cbranch_execz .LBB0_931
; %bb.918:                              ;   in Loop: Header=BB0_569 Depth=2
	v_and_b32_e32 v118, 0x7fffffff, v2
	v_mov_b32_e32 v119, v55
	v_and_b32_e32 v5, 0x80, v3
	s_delay_alu instid0(VALU_DEP_2) | instskip(SKIP_1) | instid1(SALU_CYCLE_1)
	v_cmp_gt_u64_e32 vcc_lo, 0x43e00001, v[118:119]
                                        ; implicit-def: $vgpr118
	s_and_saveexec_b32 s8, vcc_lo
	s_xor_b32 s19, exec_lo, s8
	s_cbranch_execz .LBB0_928
; %bb.919:                              ;   in Loop: Header=BB0_569 Depth=2
	v_mov_b32_e32 v118, 0
	s_mov_b32 s20, exec_lo
	v_cmpx_ne_u32_e32 0, v2
	s_cbranch_execz .LBB0_927
; %bb.920:                              ;   in Loop: Header=BB0_569 Depth=2
	v_bfe_u32 v46, v2, 23, 8
	v_and_b32_e32 v118, 0x7fffff, v2
	s_mov_b32 s21, exec_lo
	s_delay_alu instid0(VALU_DEP_2) | instskip(SKIP_1) | instid1(VALU_DEP_3)
	v_sub_nc_u32_e32 v3, 0x79, v46
	v_cmp_gt_u32_e32 vcc_lo, 0x7a, v46
	v_or_b32_e32 v119, 0x800000, v118
	s_delay_alu instid0(VALU_DEP_3) | instskip(SKIP_1) | instid1(VALU_DEP_3)
	v_cndmask_b32_e32 v3, 0, v3, vcc_lo
	v_cmp_eq_u32_e32 vcc_lo, 0, v46
	v_cndmask_b32_e32 v118, v119, v118, vcc_lo
	s_delay_alu instid0(VALU_DEP_3) | instskip(NEXT) | instid1(VALU_DEP_1)
	v_cndmask_b32_e64 v47, v3, 0x78, vcc_lo
	v_dual_mov_b32 v119, v55 :: v_dual_add_nc_u32 v2, 20, v47
	v_add_nc_u32_e32 v58, 19, v47
	s_delay_alu instid0(VALU_DEP_2) | instskip(NEXT) | instid1(VALU_DEP_2)
	v_lshlrev_b64_e64 v[2:3], v2, -1
	v_lshlrev_b64_e64 v[58:59], v58, 1
	s_delay_alu instid0(VALU_DEP_2) | instskip(NEXT) | instid1(VALU_DEP_3)
	v_bfi_b32 v61, v3, 0, 0
	v_bfi_b32 v60, v2, 0, v118
	v_lshrrev_b64 v[2:3], v47, v[118:119]
	s_delay_alu instid0(VALU_DEP_1) | instskip(NEXT) | instid1(VALU_DEP_3)
	v_mov_b64_e32 v[118:119], v[2:3]
	v_cmpx_eq_u64_e64 v[60:61], v[58:59]
; %bb.921:                              ;   in Loop: Header=BB0_569 Depth=2
	v_bfe_u32 v118, v2, 20, 1
	v_mov_b32_e32 v119, v55
	s_delay_alu instid0(VALU_DEP_1) | instskip(NEXT) | instid1(VALU_DEP_1)
	v_add_nc_u64_e32 v[118:119], v[2:3], v[118:119]
	v_add_nc_u64_e32 v[118:119], -1, v[118:119]
; %bb.922:                              ;   in Loop: Header=BB0_569 Depth=2
	s_or_b32 exec_lo, exec_lo, s21
	v_add_nc_u32_e32 v3, 0xffffff81, v46
	v_lshrrev_b32_e32 v119, 23, v2
	s_mov_b32 s8, exec_lo
	s_delay_alu instid0(VALU_DEP_2) | instskip(NEXT) | instid1(VALU_DEP_1)
	v_cndmask_b32_e64 v3, v3, 0xffffff82, vcc_lo
	v_add3_u32 v119, v47, v3, v119
	v_and_b32_e32 v3, 0xfffff, v118
                                        ; implicit-def: $vgpr118
	s_delay_alu instid0(VALU_DEP_1) | instskip(SKIP_1) | instid1(VALU_DEP_2)
	v_dual_add_nc_u32 v46, 6, v119 :: v_dual_add_nc_u32 v2, v3, v2
	v_mov_b32_e32 v3, v55
	v_cmpx_ne_u32_e32 0, v46
	s_xor_b32 s8, exec_lo, s8
; %bb.923:                              ;   in Loop: Header=BB0_569 Depth=2
	s_delay_alu instid0(VALU_DEP_2) | instskip(SKIP_2) | instid1(VALU_DEP_2)
	v_cmp_lt_u64_e32 vcc_lo, 0xffffff, v[2:3]
	v_add_nc_u32_e32 v118, 7, v119
	v_cndmask_b32_e64 v119, 0, 1, vcc_lo
	v_cndmask_b32_e32 v118, v46, v118, vcc_lo
	s_delay_alu instid0(VALU_DEP_2)
	v_lshrrev_b64 v[2:3], v119, v[2:3]
; %bb.924:                              ;   in Loop: Header=BB0_569 Depth=2
	s_and_not1_saveexec_b32 s8, s8
; %bb.925:                              ;   in Loop: Header=BB0_569 Depth=2
	s_delay_alu instid0(VALU_DEP_1)
	v_bfe_u32 v118, v2, 23, 1
; %bb.926:                              ;   in Loop: Header=BB0_569 Depth=2
	s_or_b32 exec_lo, exec_lo, s8
	s_delay_alu instid0(VALU_DEP_2) | instskip(NEXT) | instid1(VALU_DEP_2)
	v_lshrrev_b64 v[2:3], 20, v[2:3]
	v_cmp_gt_i32_e32 vcc_lo, 16, v118
	v_min_i32_e32 v119, 15, v118
	v_cmp_eq_u32_e64 s8, 0, v118
	s_delay_alu instid0(VALU_DEP_4) | instskip(NEXT) | instid1(VALU_DEP_3)
	v_cndmask_b32_e32 v3, 0, v3, vcc_lo
	v_dual_cndmask_b32 v2, 7, v2 :: v_dual_lshlrev_b32 v119, 3, v119
	s_delay_alu instid0(VALU_DEP_1) | instskip(NEXT) | instid1(VALU_DEP_2)
	v_and_b32_e32 v119, 0xf8, v119
	v_cmp_eq_u64_e32 vcc_lo, 0, v[2:3]
	s_delay_alu instid0(VALU_DEP_2)
	v_and_or_b32 v2, v2, 7, v119
	s_and_b32 s8, s8, vcc_lo
	s_delay_alu instid0(VALU_DEP_1) | instid1(SALU_CYCLE_1)
	v_cndmask_b32_e64 v2, v2, 0, s8
	s_delay_alu instid0(VALU_DEP_1)
	v_or_b32_e32 v118, v2, v5
.LBB0_927:                              ;   in Loop: Header=BB0_569 Depth=2
	s_or_b32 exec_lo, exec_lo, s20
                                        ; implicit-def: $vgpr5
.LBB0_928:                              ;   in Loop: Header=BB0_569 Depth=2
	s_and_not1_saveexec_b32 s8, s19
; %bb.929:                              ;   in Loop: Header=BB0_569 Depth=2
	v_or_b32_e32 v118, 0x7e, v5
; %bb.930:                              ;   in Loop: Header=BB0_569 Depth=2
	s_or_b32 exec_lo, exec_lo, s8
                                        ; implicit-def: $vgpr3
.LBB0_931:                              ;   in Loop: Header=BB0_569 Depth=2
	s_and_not1_saveexec_b32 s8, s18
; %bb.932:                              ;   in Loop: Header=BB0_569 Depth=2
	v_or_b32_e32 v118, 0x7f, v3
; %bb.933:                              ;   in Loop: Header=BB0_569 Depth=2
	s_or_b32 exec_lo, exec_lo, s8
	v_and_b32_e32 v2, 0xff000000, v4
	v_dual_mov_b32 v3, v55 :: v_dual_lshrrev_b32 v46, 24, v4
	v_lshrrev_b32_e32 v119, 24, v54
	s_delay_alu instid0(VALU_DEP_2) | instskip(SKIP_1) | instid1(SALU_CYCLE_1)
	v_cmp_ne_u64_e32 vcc_lo, 0, v[2:3]
                                        ; implicit-def: $vgpr2
	s_and_saveexec_b32 s8, s6
	s_xor_b32 s18, exec_lo, s8
	s_cbranch_execz .LBB0_951
; %bb.934:                              ;   in Loop: Header=BB0_569 Depth=2
	v_dual_mov_b32 v5, 0 :: v_dual_mov_b32 v2, 0
	s_and_saveexec_b32 s19, vcc_lo
	s_cbranch_execz .LBB0_942
; %bb.935:                              ;   in Loop: Header=BB0_569 Depth=2
	v_bfrev_b32_e32 v2, 1
	s_mov_b32 s20, exec_lo
	v_cmpx_ne_u32_e32 0x80, v46
	s_cbranch_execz .LBB0_941
; %bb.936:                              ;   in Loop: Header=BB0_569 Depth=2
	v_bfe_u32 v47, v4, 24, 7
	v_mov_b32_e32 v2, 0x7f800001
	s_mov_b32 s21, exec_lo
	s_delay_alu instid0(VALU_DEP_2)
	v_cmpx_ne_u32_e32 0x7f, v47
	s_cbranch_execz .LBB0_940
; %bb.937:                              ;   in Loop: Header=BB0_569 Depth=2
	v_dual_mov_b32 v3, v55 :: v_dual_bitop2_b32 v2, 7, v46 bitop3:0x40
	v_lshrrev_b32_e32 v4, 3, v47
	s_mov_b32 s22, exec_lo
	v_cmpx_gt_u32_e32 8, v47
; %bb.938:                              ;   in Loop: Header=BB0_569 Depth=2
	s_delay_alu instid0(VALU_DEP_3) | instskip(NEXT) | instid1(VALU_DEP_1)
	v_clz_i32_u32_e32 v4, v2
	v_min_u32_e32 v4, 32, v4
	s_delay_alu instid0(VALU_DEP_1) | instskip(NEXT) | instid1(VALU_DEP_1)
	v_subrev_nc_u32_e32 v47, 28, v4
	v_lshlrev_b64_e32 v[2:3], v47, v[2:3]
	s_delay_alu instid0(VALU_DEP_1)
	v_dual_sub_nc_u32 v4, 29, v4 :: v_dual_bitop2_b32 v2, 7, v2 bitop3:0x40
; %bb.939:                              ;   in Loop: Header=BB0_569 Depth=2
	s_or_b32 exec_lo, exec_lo, s22
	v_lshlrev_b32_e32 v3, 24, v46
	s_delay_alu instid0(VALU_DEP_2) | instskip(NEXT) | instid1(VALU_DEP_3)
	v_lshlrev_b32_e32 v2, 20, v2
	v_lshl_add_u32 v4, v4, 23, 0x3c000000
	s_delay_alu instid0(VALU_DEP_3) | instskip(NEXT) | instid1(VALU_DEP_1)
	v_and_b32_e32 v3, 0x80000000, v3
	v_or3_b32 v2, v2, v3, v4
.LBB0_940:                              ;   in Loop: Header=BB0_569 Depth=2
	s_or_b32 exec_lo, exec_lo, s21
.LBB0_941:                              ;   in Loop: Header=BB0_569 Depth=2
	s_delay_alu instid0(SALU_CYCLE_1)
	s_or_b32 exec_lo, exec_lo, s20
.LBB0_942:                              ;   in Loop: Header=BB0_569 Depth=2
	s_delay_alu instid0(SALU_CYCLE_1) | instskip(NEXT) | instid1(SALU_CYCLE_1)
	s_or_b32 exec_lo, exec_lo, s19
	s_mov_b32 s19, exec_lo
	v_cmpx_lt_u32_e32 0xffffff, v54
	s_cbranch_execz .LBB0_950
; %bb.943:                              ;   in Loop: Header=BB0_569 Depth=2
	v_bfrev_b32_e32 v5, 1
	s_mov_b32 s20, exec_lo
	v_cmpx_ne_u32_e32 0x80, v119
	s_cbranch_execz .LBB0_949
; %bb.944:                              ;   in Loop: Header=BB0_569 Depth=2
	v_bfe_u32 v4, v54, 24, 7
	v_mov_b32_e32 v5, 0x7f800001
	s_mov_b32 s21, exec_lo
	s_delay_alu instid0(VALU_DEP_2)
	v_cmpx_ne_u32_e32 0x7f, v4
	s_cbranch_execz .LBB0_948
; %bb.945:                              ;   in Loop: Header=BB0_569 Depth=2
	v_dual_lshrrev_b32 v3, 3, v4 :: v_dual_bitop2_b32 v54, 7, v119 bitop3:0x40
	s_mov_b32 s22, exec_lo
	v_cmpx_gt_u32_e32 8, v4
; %bb.946:                              ;   in Loop: Header=BB0_569 Depth=2
	s_delay_alu instid0(VALU_DEP_2) | instskip(NEXT) | instid1(VALU_DEP_1)
	v_clz_i32_u32_e32 v3, v54
	v_min_u32_e32 v3, 32, v3
	s_delay_alu instid0(VALU_DEP_1) | instskip(NEXT) | instid1(VALU_DEP_1)
	v_subrev_nc_u32_e32 v4, 28, v3
	v_lshlrev_b64_e32 v[4:5], v4, v[54:55]
	s_delay_alu instid0(VALU_DEP_1)
	v_dual_sub_nc_u32 v3, 29, v3 :: v_dual_bitop2_b32 v54, 7, v4 bitop3:0x40
; %bb.947:                              ;   in Loop: Header=BB0_569 Depth=2
	s_or_b32 exec_lo, exec_lo, s22
	s_delay_alu instid0(VALU_DEP_1) | instskip(NEXT) | instid1(VALU_DEP_2)
	v_dual_lshlrev_b32 v4, 24, v119 :: v_dual_lshlrev_b32 v5, 20, v54
	v_lshl_add_u32 v3, v3, 23, 0x3c000000
	s_delay_alu instid0(VALU_DEP_2) | instskip(NEXT) | instid1(VALU_DEP_1)
	v_and_b32_e32 v4, 0x80000000, v4
	v_or3_b32 v5, v5, v4, v3
.LBB0_948:                              ;   in Loop: Header=BB0_569 Depth=2
	s_or_b32 exec_lo, exec_lo, s21
.LBB0_949:                              ;   in Loop: Header=BB0_569 Depth=2
	s_delay_alu instid0(SALU_CYCLE_1)
	s_or_b32 exec_lo, exec_lo, s20
.LBB0_950:                              ;   in Loop: Header=BB0_569 Depth=2
	s_delay_alu instid0(SALU_CYCLE_1) | instskip(NEXT) | instid1(VALU_DEP_1)
	s_or_b32 exec_lo, exec_lo, s19
	v_dual_max_num_f32 v3, v5, v5 :: v_dual_max_num_f32 v2, v2, v2
                                        ; implicit-def: $vgpr119
                                        ; implicit-def: $vgpr46
                                        ; implicit-def: $vgpr4_vgpr5
	s_delay_alu instid0(VALU_DEP_1)
	v_max_num_f32_e32 v2, v2, v3
.LBB0_951:                              ;   in Loop: Header=BB0_569 Depth=2
	s_and_not1_saveexec_b32 s8, s18
	s_cbranch_execz .LBB0_969
; %bb.952:                              ;   in Loop: Header=BB0_569 Depth=2
	v_dual_mov_b32 v5, 0 :: v_dual_mov_b32 v2, 0
	s_and_saveexec_b32 s18, vcc_lo
	s_cbranch_execz .LBB0_960
; %bb.953:                              ;   in Loop: Header=BB0_569 Depth=2
	v_bfrev_b32_e32 v2, 1
	s_mov_b32 s19, exec_lo
	v_cmpx_ne_u32_e32 0x80, v46
	s_cbranch_execz .LBB0_959
; %bb.954:                              ;   in Loop: Header=BB0_569 Depth=2
	v_bfe_u32 v47, v4, 24, 7
	v_mov_b32_e32 v2, 0x7f800001
	s_mov_b32 s20, exec_lo
	s_delay_alu instid0(VALU_DEP_2)
	v_cmpx_ne_u32_e32 0x7f, v47
	s_cbranch_execz .LBB0_958
; %bb.955:                              ;   in Loop: Header=BB0_569 Depth=2
	v_dual_mov_b32 v3, v55 :: v_dual_bitop2_b32 v2, 7, v46 bitop3:0x40
	v_lshrrev_b32_e32 v4, 3, v47
	s_mov_b32 s21, exec_lo
	v_cmpx_gt_u32_e32 8, v47
; %bb.956:                              ;   in Loop: Header=BB0_569 Depth=2
	s_delay_alu instid0(VALU_DEP_3) | instskip(NEXT) | instid1(VALU_DEP_1)
	v_clz_i32_u32_e32 v4, v2
	v_min_u32_e32 v4, 32, v4
	s_delay_alu instid0(VALU_DEP_1) | instskip(NEXT) | instid1(VALU_DEP_1)
	v_subrev_nc_u32_e32 v47, 28, v4
	v_lshlrev_b64_e32 v[2:3], v47, v[2:3]
	s_delay_alu instid0(VALU_DEP_1)
	v_dual_sub_nc_u32 v4, 29, v4 :: v_dual_bitop2_b32 v2, 7, v2 bitop3:0x40
; %bb.957:                              ;   in Loop: Header=BB0_569 Depth=2
	s_or_b32 exec_lo, exec_lo, s21
	v_lshlrev_b32_e32 v3, 24, v46
	s_delay_alu instid0(VALU_DEP_2) | instskip(NEXT) | instid1(VALU_DEP_3)
	v_lshlrev_b32_e32 v2, 20, v2
	v_lshl_add_u32 v4, v4, 23, 0x3c000000
	s_delay_alu instid0(VALU_DEP_3) | instskip(NEXT) | instid1(VALU_DEP_1)
	v_and_b32_e32 v3, 0x80000000, v3
	v_or3_b32 v2, v2, v3, v4
.LBB0_958:                              ;   in Loop: Header=BB0_569 Depth=2
	s_or_b32 exec_lo, exec_lo, s20
.LBB0_959:                              ;   in Loop: Header=BB0_569 Depth=2
	s_delay_alu instid0(SALU_CYCLE_1)
	s_or_b32 exec_lo, exec_lo, s19
.LBB0_960:                              ;   in Loop: Header=BB0_569 Depth=2
	s_delay_alu instid0(SALU_CYCLE_1) | instskip(NEXT) | instid1(SALU_CYCLE_1)
	s_or_b32 exec_lo, exec_lo, s18
	s_mov_b32 s18, exec_lo
	v_cmpx_lt_u32_e32 0xffffff, v54
	s_cbranch_execz .LBB0_968
; %bb.961:                              ;   in Loop: Header=BB0_569 Depth=2
	v_bfrev_b32_e32 v5, 1
	s_mov_b32 s19, exec_lo
	v_cmpx_ne_u32_e32 0x80, v119
	s_cbranch_execz .LBB0_967
; %bb.962:                              ;   in Loop: Header=BB0_569 Depth=2
	v_bfe_u32 v4, v54, 24, 7
	v_mov_b32_e32 v5, 0x7f800001
	s_mov_b32 s20, exec_lo
	s_delay_alu instid0(VALU_DEP_2)
	v_cmpx_ne_u32_e32 0x7f, v4
	s_cbranch_execz .LBB0_966
; %bb.963:                              ;   in Loop: Header=BB0_569 Depth=2
	v_dual_lshrrev_b32 v3, 3, v4 :: v_dual_bitop2_b32 v54, 7, v119 bitop3:0x40
	s_mov_b32 s21, exec_lo
	v_cmpx_gt_u32_e32 8, v4
; %bb.964:                              ;   in Loop: Header=BB0_569 Depth=2
	s_delay_alu instid0(VALU_DEP_2) | instskip(NEXT) | instid1(VALU_DEP_1)
	v_clz_i32_u32_e32 v3, v54
	v_min_u32_e32 v3, 32, v3
	s_delay_alu instid0(VALU_DEP_1) | instskip(NEXT) | instid1(VALU_DEP_1)
	v_subrev_nc_u32_e32 v4, 28, v3
	v_lshlrev_b64_e32 v[4:5], v4, v[54:55]
	s_delay_alu instid0(VALU_DEP_1)
	v_dual_sub_nc_u32 v3, 29, v3 :: v_dual_bitop2_b32 v54, 7, v4 bitop3:0x40
; %bb.965:                              ;   in Loop: Header=BB0_569 Depth=2
	s_or_b32 exec_lo, exec_lo, s21
	s_delay_alu instid0(VALU_DEP_1) | instskip(NEXT) | instid1(VALU_DEP_2)
	v_dual_lshlrev_b32 v4, 24, v119 :: v_dual_lshlrev_b32 v5, 20, v54
	v_lshl_add_u32 v3, v3, 23, 0x3c000000
	s_delay_alu instid0(VALU_DEP_2) | instskip(NEXT) | instid1(VALU_DEP_1)
	v_and_b32_e32 v4, 0x80000000, v4
	v_or3_b32 v5, v5, v4, v3
.LBB0_966:                              ;   in Loop: Header=BB0_569 Depth=2
	s_or_b32 exec_lo, exec_lo, s20
.LBB0_967:                              ;   in Loop: Header=BB0_569 Depth=2
	s_delay_alu instid0(SALU_CYCLE_1)
	s_or_b32 exec_lo, exec_lo, s19
.LBB0_968:                              ;   in Loop: Header=BB0_569 Depth=2
	s_delay_alu instid0(SALU_CYCLE_1) | instskip(NEXT) | instid1(VALU_DEP_1)
	s_or_b32 exec_lo, exec_lo, s18
	v_dual_max_num_f32 v3, v5, v5 :: v_dual_max_num_f32 v2, v2, v2
	s_delay_alu instid0(VALU_DEP_1)
	v_min_num_f32_e32 v2, v2, v3
.LBB0_969:                              ;   in Loop: Header=BB0_569 Depth=2
	s_or_b32 exec_lo, exec_lo, s8
	s_delay_alu instid0(VALU_DEP_1) | instskip(SKIP_2) | instid1(VALU_DEP_2)
	v_and_b32_e32 v54, 0x7f800000, v2
	v_lshrrev_b32_e32 v4, 24, v2
                                        ; implicit-def: $vgpr3
	s_mov_b32 s8, exec_lo
	v_cmpx_ne_u64_e32 0x7f800000, v[54:55]
	s_xor_b32 s18, exec_lo, s8
	s_cbranch_execz .LBB0_983
; %bb.970:                              ;   in Loop: Header=BB0_569 Depth=2
	v_and_b32_e32 v54, 0x7fffffff, v2
	v_and_b32_e32 v119, 0x80, v4
                                        ; implicit-def: $vgpr3
	s_mov_b32 s8, exec_lo
	s_delay_alu instid0(VALU_DEP_2)
	v_cmpx_gt_u64_e32 0x43e00001, v[54:55]
	s_xor_b32 s19, exec_lo, s8
	s_cbranch_execz .LBB0_980
; %bb.971:                              ;   in Loop: Header=BB0_569 Depth=2
	v_mov_b32_e32 v3, 0
	s_mov_b32 s20, exec_lo
	v_cmpx_ne_u32_e32 0, v2
	s_cbranch_execz .LBB0_979
; %bb.972:                              ;   in Loop: Header=BB0_569 Depth=2
	v_bfe_u32 v46, v2, 23, 8
	v_and_b32_e32 v4, 0x7fffff, v2
	s_delay_alu instid0(VALU_DEP_2) | instskip(NEXT) | instid1(VALU_DEP_2)
	v_cmp_gt_u32_e32 vcc_lo, 0x7a, v46
	v_or_b32_e32 v5, 0x800000, v4
	v_sub_nc_u32_e32 v3, 0x79, v46
	s_delay_alu instid0(VALU_DEP_1) | instskip(SKIP_1) | instid1(VALU_DEP_2)
	v_cndmask_b32_e32 v3, 0, v3, vcc_lo
	v_cmp_eq_u32_e32 vcc_lo, 0, v46
	v_cndmask_b32_e64 v47, v3, 0x78, vcc_lo
	s_delay_alu instid0(VALU_DEP_1) | instskip(SKIP_1) | instid1(VALU_DEP_2)
	v_dual_cndmask_b32 v54, v5, v4, vcc_lo :: v_dual_add_nc_u32 v2, 20, v47
	v_add_nc_u32_e32 v58, 19, v47
	v_lshlrev_b64_e64 v[2:3], v2, -1
	s_delay_alu instid0(VALU_DEP_2) | instskip(NEXT) | instid1(VALU_DEP_2)
	v_lshlrev_b64_e64 v[4:5], v58, 1
	v_bfi_b32 v59, v3, 0, 0
	s_delay_alu instid0(VALU_DEP_3) | instskip(SKIP_1) | instid1(VALU_DEP_2)
	v_bfi_b32 v58, v2, 0, v54
	v_lshrrev_b64 v[2:3], v47, v[54:55]
	v_cmp_eq_u64_e64 s8, v[58:59], v[4:5]
	s_delay_alu instid0(VALU_DEP_2)
	v_mov_b64_e32 v[4:5], v[2:3]
	s_and_saveexec_b32 s21, s8
; %bb.973:                              ;   in Loop: Header=BB0_569 Depth=2
	v_bfe_u32 v54, v2, 20, 1
	s_delay_alu instid0(VALU_DEP_1) | instskip(NEXT) | instid1(VALU_DEP_1)
	v_add_nc_u64_e32 v[4:5], v[2:3], v[54:55]
	v_add_nc_u64_e32 v[4:5], -1, v[4:5]
; %bb.974:                              ;   in Loop: Header=BB0_569 Depth=2
	s_or_b32 exec_lo, exec_lo, s21
	v_add_nc_u32_e32 v3, 0xffffff81, v46
	v_lshrrev_b32_e32 v5, 23, v2
	s_mov_b32 s8, exec_lo
	s_delay_alu instid0(VALU_DEP_2) | instskip(NEXT) | instid1(VALU_DEP_1)
	v_cndmask_b32_e64 v3, v3, 0xffffff82, vcc_lo
	v_add3_u32 v5, v47, v3, v5
	v_and_b32_e32 v3, 0xfffff, v4
                                        ; implicit-def: $vgpr4
	s_delay_alu instid0(VALU_DEP_1) | instskip(NEXT) | instid1(VALU_DEP_1)
	v_dual_add_nc_u32 v46, 6, v5 :: v_dual_add_nc_u32 v54, v3, v2
                                        ; implicit-def: $vgpr2_vgpr3
	v_cmpx_ne_u32_e32 0, v46
	s_xor_b32 s8, exec_lo, s8
; %bb.975:                              ;   in Loop: Header=BB0_569 Depth=2
	s_delay_alu instid0(VALU_DEP_2) | instskip(SKIP_1) | instid1(VALU_DEP_1)
	v_cmp_lt_u64_e32 vcc_lo, 0xffffff, v[54:55]
	v_add_nc_u32_e32 v2, 7, v5
	v_cndmask_b32_e32 v4, v46, v2, vcc_lo
	v_cndmask_b32_e64 v2, 0, 1, vcc_lo
	s_delay_alu instid0(VALU_DEP_1)
	v_lshrrev_b64 v[2:3], v2, v[54:55]
; %bb.976:                              ;   in Loop: Header=BB0_569 Depth=2
	s_and_not1_saveexec_b32 s8, s8
; %bb.977:                              ;   in Loop: Header=BB0_569 Depth=2
	v_mov_b64_e32 v[2:3], v[54:55]
	v_bfe_u32 v4, v54, 23, 1
; %bb.978:                              ;   in Loop: Header=BB0_569 Depth=2
	s_or_b32 exec_lo, exec_lo, s8
	s_delay_alu instid0(VALU_DEP_2) | instskip(NEXT) | instid1(VALU_DEP_2)
	v_lshrrev_b64 v[2:3], 20, v[2:3]
	v_cmp_gt_i32_e32 vcc_lo, 16, v4
	v_min_i32_e32 v5, 15, v4
	v_cmp_eq_u32_e64 s8, 0, v4
	s_delay_alu instid0(VALU_DEP_2) | instskip(SKIP_1) | instid1(VALU_DEP_2)
	v_dual_cndmask_b32 v3, 0, v3, vcc_lo :: v_dual_lshlrev_b32 v5, 3, v5
	v_cndmask_b32_e32 v2, 7, v2, vcc_lo
	v_and_b32_e32 v5, 0xf8, v5
	s_delay_alu instid0(VALU_DEP_2) | instskip(NEXT) | instid1(VALU_DEP_2)
	v_cmp_eq_u64_e32 vcc_lo, 0, v[2:3]
	v_and_or_b32 v2, v2, 7, v5
	s_and_b32 s8, s8, vcc_lo
	s_delay_alu instid0(VALU_DEP_1) | instid1(SALU_CYCLE_1)
	v_cndmask_b32_e64 v2, v2, 0, s8
	s_delay_alu instid0(VALU_DEP_1)
	v_or_b32_e32 v3, v2, v119
.LBB0_979:                              ;   in Loop: Header=BB0_569 Depth=2
	s_or_b32 exec_lo, exec_lo, s20
                                        ; implicit-def: $vgpr119
.LBB0_980:                              ;   in Loop: Header=BB0_569 Depth=2
	s_and_not1_saveexec_b32 s8, s19
; %bb.981:                              ;   in Loop: Header=BB0_569 Depth=2
	v_or_b32_e32 v3, 0x7e, v119
; %bb.982:                              ;   in Loop: Header=BB0_569 Depth=2
	s_or_b32 exec_lo, exec_lo, s8
                                        ; implicit-def: $vgpr4
.LBB0_983:                              ;   in Loop: Header=BB0_569 Depth=2
	s_and_not1_saveexec_b32 s8, s18
; %bb.984:                              ;   in Loop: Header=BB0_569 Depth=2
	v_or_b32_e32 v3, 0x7f, v4
; %bb.985:                              ;   in Loop: Header=BB0_569 Depth=2
	s_or_b32 exec_lo, exec_lo, s8
	v_dual_lshlrev_b32 v2, 16, v40 :: v_dual_lshlrev_b32 v4, 16, v118
	s_delay_alu instid0(VALU_DEP_2) | instskip(SKIP_1) | instid1(VALU_DEP_3)
	v_dual_lshlrev_b32 v5, 24, v41 :: v_dual_lshlrev_b32 v3, 24, v3
	v_cmp_lt_u32_e32 vcc_lo, 7, v57
	v_lshl_or_b32 v2, v43, 8, v2
	s_delay_alu instid0(VALU_DEP_4) | instskip(SKIP_2) | instid1(VALU_DEP_2)
	v_lshl_or_b32 v4, v45, 8, v4
	s_mov_b32 s8, -1
	s_cmp_lg_u32 vcc_lo, exec_lo
	v_or3_b32 v2, v2, v5, v117
	s_delay_alu instid0(VALU_DEP_2)
	v_or3_b32 v3, v4, v3, v44
	s_cbranch_scc0 .LBB0_1001
; %bb.986:                              ;   in Loop: Header=BB0_569 Depth=2
	s_mov_b32 s18, exec_lo
	flat_store_b8 v[18:19], v117
	s_wait_xcnt 0x0
	v_cmpx_ne_u32_e32 1, v57
	s_cbranch_execz .LBB0_988
; %bb.987:                              ;   in Loop: Header=BB0_569 Depth=2
	v_lshrrev_b32_e32 v4, 8, v2
	flat_store_b8 v[18:19], v4 offset:1
.LBB0_988:                              ;   in Loop: Header=BB0_569 Depth=2
	s_wait_xcnt 0x0
	s_or_b32 exec_lo, exec_lo, s18
	s_delay_alu instid0(SALU_CYCLE_1)
	s_mov_b32 s18, exec_lo
	v_cmpx_lt_u32_e32 2, v57
	s_cbranch_execz .LBB0_990
; %bb.989:                              ;   in Loop: Header=BB0_569 Depth=2
	flat_store_d16_hi_b8 v[18:19], v2 offset:2
.LBB0_990:                              ;   in Loop: Header=BB0_569 Depth=2
	s_wait_xcnt 0x0
	s_or_b32 exec_lo, exec_lo, s18
	s_delay_alu instid0(SALU_CYCLE_1)
	s_mov_b32 s18, exec_lo
	v_cmpx_lt_u32_e32 3, v57
	s_cbranch_execz .LBB0_992
; %bb.991:                              ;   in Loop: Header=BB0_569 Depth=2
	v_lshrrev_b32_e32 v4, 24, v2
	flat_store_b8 v[18:19], v4 offset:3
.LBB0_992:                              ;   in Loop: Header=BB0_569 Depth=2
	s_wait_xcnt 0x0
	s_or_b32 exec_lo, exec_lo, s18
	s_delay_alu instid0(SALU_CYCLE_1)
	s_mov_b32 s18, exec_lo
	v_cmpx_lt_u32_e32 4, v57
	s_cbranch_execz .LBB0_994
; %bb.993:                              ;   in Loop: Header=BB0_569 Depth=2
	flat_store_b8 v[18:19], v44 offset:4
.LBB0_994:                              ;   in Loop: Header=BB0_569 Depth=2
	s_wait_xcnt 0x0
	s_or_b32 exec_lo, exec_lo, s18
	s_delay_alu instid0(SALU_CYCLE_1)
	s_mov_b32 s18, exec_lo
	v_cmpx_lt_u32_e32 5, v57
	s_cbranch_execz .LBB0_996
; %bb.995:                              ;   in Loop: Header=BB0_569 Depth=2
	v_lshrrev_b32_e32 v4, 8, v3
	flat_store_b8 v[18:19], v4 offset:5
.LBB0_996:                              ;   in Loop: Header=BB0_569 Depth=2
	s_wait_xcnt 0x0
	s_or_b32 exec_lo, exec_lo, s18
	s_delay_alu instid0(SALU_CYCLE_1)
	s_mov_b32 s18, exec_lo
	v_cmpx_lt_u32_e32 6, v57
	s_cbranch_execz .LBB0_998
; %bb.997:                              ;   in Loop: Header=BB0_569 Depth=2
	flat_store_d16_hi_b8 v[18:19], v3 offset:6
.LBB0_998:                              ;   in Loop: Header=BB0_569 Depth=2
	s_wait_xcnt 0x0
	s_or_b32 exec_lo, exec_lo, s18
	s_and_saveexec_b32 s8, vcc_lo
	s_cbranch_execz .LBB0_1000
; %bb.999:                              ;   in Loop: Header=BB0_569 Depth=2
	v_lshrrev_b32_e32 v4, 24, v3
	flat_store_b8 v[18:19], v4 offset:7
.LBB0_1000:                             ;   in Loop: Header=BB0_569 Depth=2
	s_wait_xcnt 0x0
	s_or_b32 exec_lo, exec_lo, s8
	s_mov_b32 s8, 0
.LBB0_1001:                             ;   in Loop: Header=BB0_569 Depth=2
	s_delay_alu instid0(SALU_CYCLE_1)
	s_and_b32 vcc_lo, exec_lo, s8
	s_cbranch_vccz .LBB0_568
; %bb.1002:                             ;   in Loop: Header=BB0_569 Depth=2
	global_store_b64 v[18:19], v[2:3], off
	s_branch .LBB0_568
.LBB0_1003:                             ;   in Loop: Header=BB0_36 Depth=1
	s_or_b32 exec_lo, exec_lo, s17
	s_delay_alu instid0(SALU_CYCLE_1)
	s_or_b32 exec_lo, exec_lo, s9
	s_and_saveexec_b32 s8, s3
	s_cbranch_execz .LBB0_566
.LBB0_1004:                             ;   in Loop: Header=BB0_36 Depth=1
	s_and_saveexec_b32 s9, s4
	s_delay_alu instid0(SALU_CYCLE_1)
	s_xor_b32 s9, exec_lo, s9
	s_cbranch_execz .LBB0_1019
; %bb.1005:                             ;   in Loop: Header=BB0_36 Depth=1
	s_and_saveexec_b32 s17, s5
	s_cbranch_execz .LBB0_1018
; %bb.1006:                             ;   in Loop: Header=BB0_36 Depth=1
	s_mov_b32 s19, exec_lo
	s_mov_b32 s18, exec_lo
	v_mbcnt_lo_u32_b32 v2, s19, 0
	global_wb scope:SCOPE_DEV
	s_wait_storecnt 0x0
	s_wait_loadcnt_dscnt 0x0
	global_inv scope:SCOPE_DEV
	v_cmpx_eq_u32_e32 0, v2
	s_cbranch_execz .LBB0_1008
; %bb.1007:                             ;   in Loop: Header=BB0_36 Depth=1
	s_bcnt1_i32_b32 s19, s19
	s_delay_alu instid0(SALU_CYCLE_1)
	v_mov_b32_e32 v54, s19
	s_wait_loadcnt 0x0
	ds_add_u64 v0, v[54:55]
	s_trap 2
.LBB0_1008:                             ;   in Loop: Header=BB0_36 Depth=1
	s_or_b32 exec_lo, exec_lo, s18
	s_trap 2
	ds_load_b64 v[2:3], v0
	s_wait_dscnt 0x0
	v_add_nc_u64_e32 v[52:53], v[52:53], v[82:83]
	s_mov_b32 s18, exec_lo
	s_delay_alu instid0(VALU_DEP_1)
	v_cmpx_lt_u64_e64 v[2:3], v[52:53]
	s_cbranch_execz .LBB0_1017
; %bb.1009:                             ;   in Loop: Header=BB0_36 Depth=1
	s_mov_b32 s19, 0
	s_mov_b32 s22, 0
                                        ; implicit-def: $sgpr20
                                        ; implicit-def: $sgpr21
	s_branch .LBB0_1011
.LBB0_1010:                             ;   in Loop: Header=BB0_1011 Depth=2
	s_or_b32 exec_lo, exec_lo, s24
	s_delay_alu instid0(SALU_CYCLE_1) | instskip(NEXT) | instid1(SALU_CYCLE_1)
	s_and_b32 s23, exec_lo, s25
	s_or_b32 s19, s23, s19
	s_and_not1_b32 s20, s20, exec_lo
	s_and_b32 s23, s21, exec_lo
	s_delay_alu instid0(SALU_CYCLE_1)
	s_or_b32 s20, s20, s23
	s_and_not1_b32 exec_lo, exec_lo, s19
	s_cbranch_execz .LBB0_1015
.LBB0_1011:                             ;   Parent Loop BB0_36 Depth=1
                                        ; =>  This Inner Loop Header: Depth=2
	s_add_co_i32 s22, s22, 1
	s_delay_alu instid0(SALU_CYCLE_1) | instskip(SKIP_1) | instid1(SALU_CYCLE_1)
	s_cmp_lg_u32 s22, 0x2710
	s_cselect_b32 s23, -1, 0
	s_and_b32 vcc_lo, exec_lo, s23
	s_cbranch_vccz .LBB0_1013
; %bb.1012:                             ;   in Loop: Header=BB0_1011 Depth=2
	s_mov_b32 s25, -1
	s_or_b32 s21, s21, exec_lo
	s_and_saveexec_b32 s24, s23
	s_cbranch_execz .LBB0_1010
	s_branch .LBB0_1014
.LBB0_1013:                             ;   in Loop: Header=BB0_1011 Depth=2
	s_trap 2
	ds_load_b64 v[2:3], v0
	s_and_not1_b32 s23, s23, exec_lo
	s_mov_b32 s22, 0
	s_wait_loadcnt_dscnt 0x0
	flat_load_b32 v2, v[2:3] scope:SCOPE_SYS
	s_wait_loadcnt_dscnt 0x0
	global_inv scope:SCOPE_SYS
	v_cmp_eq_u32_e32 vcc_lo, 0, v2
	s_and_b32 s24, vcc_lo, exec_lo
	s_delay_alu instid0(SALU_CYCLE_1)
	s_or_b32 s23, s23, s24
	s_mov_b32 s25, -1
	s_or_b32 s21, s21, exec_lo
	s_and_saveexec_b32 s24, s23
	s_cbranch_execz .LBB0_1010
.LBB0_1014:                             ;   in Loop: Header=BB0_1011 Depth=2
	s_sleep 1
	s_trap 2
	ds_load_b64 v[2:3], v0
	s_wait_dscnt 0x0
	s_and_not1_b32 s21, s21, exec_lo
	v_cmp_ge_u64_e32 vcc_lo, v[2:3], v[52:53]
	s_or_not1_b32 s25, vcc_lo, exec_lo
	s_branch .LBB0_1010
.LBB0_1015:                             ;   in Loop: Header=BB0_36 Depth=1
	s_or_b32 exec_lo, exec_lo, s19
	s_and_saveexec_b32 s19, s20
	s_delay_alu instid0(SALU_CYCLE_1)
	s_xor_b32 s19, exec_lo, s19
	s_cbranch_execz .LBB0_1017
; %bb.1016:                             ;   in Loop: Header=BB0_36 Depth=1
	ds_store_b32 v0, v1
	s_trap 2
.LBB0_1017:                             ;   in Loop: Header=BB0_36 Depth=1
	s_or_b32 exec_lo, exec_lo, s18
	;;#ASMSTART
	s_wakeup
	;;#ASMEND
.LBB0_1018:                             ;   in Loop: Header=BB0_36 Depth=1
	s_or_b32 exec_lo, exec_lo, s17
.LBB0_1019:                             ;   in Loop: Header=BB0_36 Depth=1
	s_and_not1_saveexec_b32 s9, s9
	s_cbranch_execz .LBB0_1021
; %bb.1020:                             ;   in Loop: Header=BB0_36 Depth=1
	global_wb scope:SCOPE_DEV
	s_wait_storecnt 0x0
	s_wait_loadcnt_dscnt 0x0
	global_inv scope:SCOPE_DEV
	s_barrier_signal -1
	s_barrier_wait -1
.LBB0_1021:                             ;   in Loop: Header=BB0_36 Depth=1
	s_or_b32 exec_lo, exec_lo, s9
	s_delay_alu instid0(SALU_CYCLE_1)
	s_or_b32 exec_lo, exec_lo, s8
	s_and_saveexec_b32 s8, s7
	s_cbranch_execz .LBB0_35
.LBB0_1022:                             ;   in Loop: Header=BB0_36 Depth=1
	v_add_nc_u64_e32 v[38:39], 1, v[38:39]
	global_wb scope:SCOPE_SYS
	s_wait_storecnt 0x0
	s_wait_loadcnt_dscnt 0x0
	flat_store_b64 v[48:49], v[38:39] scope:SCOPE_SYS
	s_branch .LBB0_35
.LBB0_1023:
	s_or_b32 exec_lo, exec_lo, s15
	s_delay_alu instid0(SALU_CYCLE_1)
	s_or_b32 exec_lo, exec_lo, s13
	s_and_saveexec_b32 s1, s12
	s_cbranch_execz .LBB0_20
.LBB0_1024:
	s_wait_dscnt 0x0
	flat_store_b64 v[28:29], v[38:39] offset:104
	s_wait_xcnt 0x0
	s_or_b32 exec_lo, exec_lo, s1
	s_and_saveexec_b32 s1, s0
	s_cbranch_execnz .LBB0_21
	s_branch .LBB0_22
.LBB0_1025:
	s_or_b32 exec_lo, exec_lo, s4
	s_and_saveexec_b32 s4, s5
	s_delay_alu instid0(SALU_CYCLE_1)
	s_xor_b32 s4, exec_lo, s4
	s_cbranch_execz .LBB0_1027
; %bb.1026:
	v_mov_b32_e32 v0, 1
	ds_store_b32 v0, v0
	s_trap 2
.LBB0_1027:
	s_or_b32 exec_lo, exec_lo, s3
	;;#ASMSTART
	s_wakeup
	;;#ASMEND
.LBB0_1028:
	s_or_b32 exec_lo, exec_lo, s2
.LBB0_1029:
	s_and_not1_saveexec_b32 s1, s1
	s_cbranch_execz .LBB0_1031
; %bb.1030:
	global_wb scope:SCOPE_DEV
	s_wait_storecnt 0x0
	s_wait_loadcnt_dscnt 0x0
	global_inv scope:SCOPE_DEV
	s_barrier_signal -1
	s_barrier_wait -1
.LBB0_1031:
	s_or_b32 exec_lo, exec_lo, s0
	s_clause 0x15
	scratch_load_b32 v77, off, s32
	scratch_load_b32 v76, off, s32 offset:4
	scratch_load_b32 v75, off, s32 offset:8
	;; [unrolled: 1-line block ×21, first 2 shown]
	s_wait_loadcnt_dscnt 0x0
	s_set_pc_i64 s[30:31]
.Lfunc_end0:
	.size	_ZN12_GLOBAL__N_17runRingI14__hip_fp8_e4m310FuncMinMaxIS1_E7ProtoLLLi0ELi1ELi0EEEviiP15ncclDevWorkColl, .Lfunc_end0-_ZN12_GLOBAL__N_17runRingI14__hip_fp8_e4m310FuncMinMaxIS1_E7ProtoLLLi0ELi1ELi0EEEviiP15ncclDevWorkColl
                                        ; -- End function
	.set .L_ZN12_GLOBAL__N_17runRingI14__hip_fp8_e4m310FuncMinMaxIS1_E7ProtoLLLi0ELi1ELi0EEEviiP15ncclDevWorkColl.num_vgpr, 120
	.set .L_ZN12_GLOBAL__N_17runRingI14__hip_fp8_e4m310FuncMinMaxIS1_E7ProtoLLLi0ELi1ELi0EEEviiP15ncclDevWorkColl.num_agpr, 0
	.set .L_ZN12_GLOBAL__N_17runRingI14__hip_fp8_e4m310FuncMinMaxIS1_E7ProtoLLLi0ELi1ELi0EEEviiP15ncclDevWorkColl.numbered_sgpr, 33
	.set .L_ZN12_GLOBAL__N_17runRingI14__hip_fp8_e4m310FuncMinMaxIS1_E7ProtoLLLi0ELi1ELi0EEEviiP15ncclDevWorkColl.num_named_barrier, 0
	.set .L_ZN12_GLOBAL__N_17runRingI14__hip_fp8_e4m310FuncMinMaxIS1_E7ProtoLLLi0ELi1ELi0EEEviiP15ncclDevWorkColl.private_seg_size, 92
	.set .L_ZN12_GLOBAL__N_17runRingI14__hip_fp8_e4m310FuncMinMaxIS1_E7ProtoLLLi0ELi1ELi0EEEviiP15ncclDevWorkColl.uses_vcc, 1
	.set .L_ZN12_GLOBAL__N_17runRingI14__hip_fp8_e4m310FuncMinMaxIS1_E7ProtoLLLi0ELi1ELi0EEEviiP15ncclDevWorkColl.uses_flat_scratch, 1
	.set .L_ZN12_GLOBAL__N_17runRingI14__hip_fp8_e4m310FuncMinMaxIS1_E7ProtoLLLi0ELi1ELi0EEEviiP15ncclDevWorkColl.has_dyn_sized_stack, 0
	.set .L_ZN12_GLOBAL__N_17runRingI14__hip_fp8_e4m310FuncMinMaxIS1_E7ProtoLLLi0ELi1ELi0EEEviiP15ncclDevWorkColl.has_recursion, 0
	.set .L_ZN12_GLOBAL__N_17runRingI14__hip_fp8_e4m310FuncMinMaxIS1_E7ProtoLLLi0ELi1ELi0EEEviiP15ncclDevWorkColl.has_indirect_call, 0
	.section	.AMDGPU.csdata,"",@progbits
; Function info:
; codeLenInByte = 31944
; TotalNumSgprs: 35
; NumVgprs: 120
; ScratchSize: 92
; MemoryBound: 0
	.text
	.p2align	2                               ; -- Begin function _Z53ncclDevFunc_ReduceScatter_RING_LL_MinMax_f8e4m3_0_0_1v
	.type	_Z53ncclDevFunc_ReduceScatter_RING_LL_MinMax_f8e4m3_0_0_1v,@function
_Z53ncclDevFunc_ReduceScatter_RING_LL_MinMax_f8e4m3_0_0_1v: ; @_Z53ncclDevFunc_ReduceScatter_RING_LL_MinMax_f8e4m3_0_0_1v
; %bb.0:
	s_wait_loadcnt_dscnt 0x0
	s_wait_kmcnt 0x0
	s_mov_b32 s47, s33
	s_mov_b32 s33, s32
	s_or_saveexec_b32 s0, -1
	scratch_store_b32 off, v41, s33 offset:4 ; 4-byte Folded Spill
	s_wait_xcnt 0x0
	s_mov_b32 exec_lo, s0
	s_add_co_i32 s32, s32, 16
	scratch_store_b32 off, v40, s33         ; 4-byte Folded Spill
	v_writelane_b32 v41, s30, 0
	v_writelane_b32 v41, s31, 1
	s_trap 2
	ds_load_b32 v0, v0
	s_wait_xcnt 0x0
	v_and_b32_e32 v40, 0x3ff, v31
	s_mov_b32 s42, s12
	s_mov_b64 s[40:41], s[8:9]
	s_mov_b32 s2, exec_lo
	s_wait_dscnt 0x0
	v_cmpx_lt_i32_e64 v40, v0
	s_cbranch_execz .LBB1_5
; %bb.1:
	s_load_b32 s0, s[40:41], 0x0
	s_bfe_u32 s1, ttmp6, 0x4000c
	s_and_b32 s3, ttmp6, 15
	s_add_co_i32 s1, s1, 1
	s_getreg_b32 s4, hwreg(HW_REG_IB_STS2, 6, 4)
	s_mul_i32 s1, ttmp9, s1
	v_mov_b32_e32 v2, v40
	s_add_co_i32 s3, s3, s1
	s_cmp_eq_u32 s4, 0
                                        ; implicit-def: $vgpr3
	s_cselect_b32 s1, ttmp9, s3
	s_mov_b32 s3, 0
	s_wait_kmcnt 0x0
	s_cmp_lt_u32 s1, s0
	s_mov_b32 s1, 0
	s_cselect_b32 s0, 12, 18
	s_delay_alu instid0(SALU_CYCLE_1)
	s_add_nc_u64 s[4:5], s[40:41], s[0:1]
	s_load_u16 s0, s[4:5], 0x0
	s_trap 2
	ds_load_b32 v1, v0
	s_wait_dscnt 0x0
	s_wait_kmcnt 0x0
	v_mul_lo_u32 v1, v1, s0
	s_branch .LBB1_3
.LBB1_2:                                ;   in Loop: Header=BB1_3 Depth=1
	s_or_b32 exec_lo, exec_lo, s4
	v_dual_add_nc_u32 v2, s0, v2 :: v_dual_add_nc_u32 v3, v3, v1
	s_delay_alu instid0(VALU_DEP_1) | instskip(SKIP_1) | instid1(SALU_CYCLE_1)
	v_cmp_ge_i32_e32 vcc_lo, v2, v0
	s_or_b32 s3, vcc_lo, s3
	s_and_not1_b32 exec_lo, exec_lo, s3
	s_cbranch_execz .LBB1_5
.LBB1_3:                                ; =>This Inner Loop Header: Depth=1
	ds_load_b32 v4, v3
	s_mov_b32 s4, exec_lo
	s_wait_dscnt 0x0
	v_and_b32_e32 v4, 0x1000000, v4
	s_delay_alu instid0(VALU_DEP_1)
	v_cmpx_ne_u32_e32 0, v4
	s_cbranch_execz .LBB1_2
; %bb.4:                                ;   in Loop: Header=BB1_3 Depth=1
	ds_load_b64 v[4:5], v3 offset:104
	s_wait_dscnt 0x0
	flat_load_u8 v4, v[4:5]
	s_wait_xcnt 0x0
	v_mov_b32_e32 v5, s1
	s_wait_loadcnt_dscnt 0x0
	v_and_b32_e32 v4, 0xffff, v4
	ds_store_b64 v3, v[4:5] offset:104
	s_branch .LBB1_2
.LBB1_5:
	s_or_b32 exec_lo, exec_lo, s2
	s_wait_storecnt_dscnt 0x0
	s_barrier_signal -1
	s_barrier_wait -1
	s_trap 2
	ds_load_b32 v0, v0
	s_wait_dscnt 0x0
	v_cmp_gt_i32_e32 vcc_lo, 1, v0
	s_cbranch_vccnz .LBB1_13
; %bb.6:
	s_mov_b32 s43, 0
	s_get_pc_i64 s[44:45]
	s_add_nc_u64 s[44:45], s[44:45], _ZN12_GLOBAL__N_17runRingI14__hip_fp8_e4m310FuncMinMaxIS1_E7ProtoLLLi0ELi1ELi0EEEviiP15ncclDevWorkColl@rel64+4
	s_branch .LBB1_8
.LBB1_7:                                ;   in Loop: Header=BB1_8 Depth=1
	s_or_b32 exec_lo, exec_lo, s46
	s_trap 2
	ds_load_b32 v0, v0
	s_add_co_i32 s43, s43, 1
	s_wait_dscnt 0x0
	v_cmp_lt_i32_e32 vcc_lo, s43, v0
	s_cbranch_vccz .LBB1_13
.LBB1_8:                                ; =>This Inner Loop Header: Depth=1
	s_trap 2
	ds_load_b32 v0, v0
	s_cmp_eq_u32 s43, 0
	s_cbranch_scc1 .LBB1_11
; %bb.9:                                ;   in Loop: Header=BB1_8 Depth=1
	s_trap 2
	s_wait_dscnt 0x0
	ds_load_b32 v1, v0
	s_wait_dscnt 0x0
	v_xor_b32_e32 v1, v1, v0
	s_delay_alu instid0(VALU_DEP_1) | instskip(NEXT) | instid1(VALU_DEP_1)
	v_and_b32_e32 v1, 0xff0000, v1
	v_cmp_eq_u32_e32 vcc_lo, 0, v1
	s_cbranch_vccnz .LBB1_11
; %bb.10:                               ;   in Loop: Header=BB1_8 Depth=1
	s_barrier_signal -1
	s_barrier_wait -1
	ds_load_b32 v0, v0
.LBB1_11:                               ;   in Loop: Header=BB1_8 Depth=1
	s_wait_dscnt 0x0
	v_lshrrev_b32_e32 v0, 11, v0
	s_mov_b32 s46, exec_lo
	s_delay_alu instid0(VALU_DEP_1) | instskip(NEXT) | instid1(VALU_DEP_1)
	v_and_b32_e32 v1, 0x1fe0, v0
	v_cmpx_lt_u32_e64 v40, v1
	s_cbranch_execz .LBB1_7
; %bb.12:                               ;   in Loop: Header=BB1_8 Depth=1
	s_mov_b64 s[0:1], src_shared_base
	s_delay_alu instid0(SALU_CYCLE_1)
	v_dual_mov_b32 v0, v40 :: v_dual_mov_b32 v3, s1
	s_mov_b64 s[8:9], s[40:41]
	s_mov_b32 s12, s42
	s_swap_pc_i64 s[30:31], s[44:45]
	s_branch .LBB1_7
.LBB1_13:
	scratch_load_b32 v40, off, s33          ; 4-byte Folded Reload
	v_readlane_b32 s30, v41, 0
	v_readlane_b32 s31, v41, 1
	s_mov_b32 s32, s33
	s_wait_xcnt 0x0
	s_or_saveexec_b32 s0, -1
	scratch_load_b32 v41, off, s33 offset:4 ; 4-byte Folded Reload
	s_wait_xcnt 0x0
	s_mov_b32 exec_lo, s0
	s_mov_b32 s33, s47
	s_wait_loadcnt 0x0
	s_set_pc_i64 s[30:31]
.Lfunc_end1:
	.size	_Z53ncclDevFunc_ReduceScatter_RING_LL_MinMax_f8e4m3_0_0_1v, .Lfunc_end1-_Z53ncclDevFunc_ReduceScatter_RING_LL_MinMax_f8e4m3_0_0_1v
                                        ; -- End function
	.set .L_Z53ncclDevFunc_ReduceScatter_RING_LL_MinMax_f8e4m3_0_0_1v.num_vgpr, max(42, .L_ZN12_GLOBAL__N_17runRingI14__hip_fp8_e4m310FuncMinMaxIS1_E7ProtoLLLi0ELi1ELi0EEEviiP15ncclDevWorkColl.num_vgpr)
	.set .L_Z53ncclDevFunc_ReduceScatter_RING_LL_MinMax_f8e4m3_0_0_1v.num_agpr, max(0, .L_ZN12_GLOBAL__N_17runRingI14__hip_fp8_e4m310FuncMinMaxIS1_E7ProtoLLLi0ELi1ELi0EEEviiP15ncclDevWorkColl.num_agpr)
	.set .L_Z53ncclDevFunc_ReduceScatter_RING_LL_MinMax_f8e4m3_0_0_1v.numbered_sgpr, max(48, .L_ZN12_GLOBAL__N_17runRingI14__hip_fp8_e4m310FuncMinMaxIS1_E7ProtoLLLi0ELi1ELi0EEEviiP15ncclDevWorkColl.numbered_sgpr)
	.set .L_Z53ncclDevFunc_ReduceScatter_RING_LL_MinMax_f8e4m3_0_0_1v.num_named_barrier, max(0, .L_ZN12_GLOBAL__N_17runRingI14__hip_fp8_e4m310FuncMinMaxIS1_E7ProtoLLLi0ELi1ELi0EEEviiP15ncclDevWorkColl.num_named_barrier)
	.set .L_Z53ncclDevFunc_ReduceScatter_RING_LL_MinMax_f8e4m3_0_0_1v.private_seg_size, 16+max(.L_ZN12_GLOBAL__N_17runRingI14__hip_fp8_e4m310FuncMinMaxIS1_E7ProtoLLLi0ELi1ELi0EEEviiP15ncclDevWorkColl.private_seg_size)
	.set .L_Z53ncclDevFunc_ReduceScatter_RING_LL_MinMax_f8e4m3_0_0_1v.uses_vcc, or(1, .L_ZN12_GLOBAL__N_17runRingI14__hip_fp8_e4m310FuncMinMaxIS1_E7ProtoLLLi0ELi1ELi0EEEviiP15ncclDevWorkColl.uses_vcc)
	.set .L_Z53ncclDevFunc_ReduceScatter_RING_LL_MinMax_f8e4m3_0_0_1v.uses_flat_scratch, or(0, .L_ZN12_GLOBAL__N_17runRingI14__hip_fp8_e4m310FuncMinMaxIS1_E7ProtoLLLi0ELi1ELi0EEEviiP15ncclDevWorkColl.uses_flat_scratch)
	.set .L_Z53ncclDevFunc_ReduceScatter_RING_LL_MinMax_f8e4m3_0_0_1v.has_dyn_sized_stack, or(0, .L_ZN12_GLOBAL__N_17runRingI14__hip_fp8_e4m310FuncMinMaxIS1_E7ProtoLLLi0ELi1ELi0EEEviiP15ncclDevWorkColl.has_dyn_sized_stack)
	.set .L_Z53ncclDevFunc_ReduceScatter_RING_LL_MinMax_f8e4m3_0_0_1v.has_recursion, or(1, .L_ZN12_GLOBAL__N_17runRingI14__hip_fp8_e4m310FuncMinMaxIS1_E7ProtoLLLi0ELi1ELi0EEEviiP15ncclDevWorkColl.has_recursion)
	.set .L_Z53ncclDevFunc_ReduceScatter_RING_LL_MinMax_f8e4m3_0_0_1v.has_indirect_call, or(0, .L_ZN12_GLOBAL__N_17runRingI14__hip_fp8_e4m310FuncMinMaxIS1_E7ProtoLLLi0ELi1ELi0EEEviiP15ncclDevWorkColl.has_indirect_call)
	.section	.AMDGPU.csdata,"",@progbits
; Function info:
; codeLenInByte = 684
; TotalNumSgprs: 50
; NumVgprs: 120
; ScratchSize: 108
; MemoryBound: 0
	.text
	.p2align	2                               ; -- Begin function _ZN12_GLOBAL__N_17runRingI14__hip_fp8_e4m310FuncMinMaxIS1_E7ProtoLLLi0ELi2ELi0EEEviiP15ncclDevWorkColl
	.type	_ZN12_GLOBAL__N_17runRingI14__hip_fp8_e4m310FuncMinMaxIS1_E7ProtoLLLi0ELi2ELi0EEEviiP15ncclDevWorkColl,@function
_ZN12_GLOBAL__N_17runRingI14__hip_fp8_e4m310FuncMinMaxIS1_E7ProtoLLLi0ELi2ELi0EEEviiP15ncclDevWorkColl: ; @_ZN12_GLOBAL__N_17runRingI14__hip_fp8_e4m310FuncMinMaxIS1_E7ProtoLLLi0ELi2ELi0EEEviiP15ncclDevWorkColl
; %bb.0:
	s_wait_loadcnt_dscnt 0x0
	s_wait_kmcnt 0x0
	s_clause 0x15
	scratch_store_b32 off, v40, s32 offset:84
	; meta instruction
	scratch_store_b32 off, v41, s32 offset:80
	; meta instruction
	;; [unrolled: 2-line block ×21, first 2 shown]
	scratch_store_b32 off, v77, s32
	s_trap 2
	s_clause 0x2
	flat_load_b32 v12, v[2:3]
	flat_load_b128 v[4:7], v[2:3] offset:72
	flat_load_b64 v[68:69], v[2:3] offset:88
	v_mov_b32_e32 v20, v1
	ds_load_b32 v8, v0
	ds_load_b64 v[22:23], v0
	s_mov_b32 s0, exec_lo
                                        ; implicit-def: $vgpr54_vgpr55
                                        ; implicit-def: $vgpr24_vgpr25
	s_wait_dscnt 0x1
	v_readfirstlane_b32 s10, v8
	s_wait_loadcnt 0x2
	v_bfe_u32 v9, v12, 8, 8
	v_bitop3_b32 v1, v12, 0xff, v12 bitop3:0x3f
	s_delay_alu instid0(VALU_DEP_1) | instskip(NEXT) | instid1(VALU_DEP_1)
	v_add_nc_u32_e32 v10, v9, v1
	v_ashrrev_i32_e32 v11, 31, v10
	s_wait_loadcnt 0x1
	s_delay_alu instid0(VALU_DEP_1) | instskip(SKIP_2) | instid1(VALU_DEP_1)
	v_mul_u64_e32 v[18:19], v[6:7], v[10:11]
	v_and_b32_e32 v10, 0xff, v12
	s_wait_xcnt 0x0
	v_cmpx_ne_u32_e64 v8, v10
	s_xor_b32 s0, exec_lo, s0
	s_cbranch_execz .LBB2_6
; %bb.1:
	s_mov_b32 s1, exec_lo
                                        ; implicit-def: $vgpr54_vgpr55
                                        ; implicit-def: $vgpr24_vgpr25
	v_cmpx_ne_u32_e64 v8, v9
	s_xor_b32 s1, exec_lo, s1
	s_cbranch_execz .LBB2_3
; %bb.2:
	flat_load_b64 v[10:11], v[2:3] offset:96
	v_add_nc_u32_e32 v1, v8, v1
	s_delay_alu instid0(VALU_DEP_1) | instskip(NEXT) | instid1(VALU_DEP_1)
	v_mad_nc_u64_u32 v[24:25], v6, v1, v[4:5]
	v_mad_u32 v8, v7, v1, v25
	v_ashrrev_i32_e32 v1, 31, v1
	s_delay_alu instid0(VALU_DEP_1)
	v_mad_u32 v25, v6, v1, v8
	s_wait_loadcnt_dscnt 0x0
	v_lshrrev_b64 v[54:55], 17, v[10:11]
.LBB2_3:
	s_wait_xcnt 0x0
	s_and_not1_saveexec_b32 s1, s1
	s_cbranch_execz .LBB2_5
; %bb.4:
	flat_load_b32 v1, v[2:3] offset:100
	v_add_nc_u64_e32 v[24:25], v[18:19], v[4:5]
	s_wait_loadcnt 0x1
	v_mov_b64_e32 v[6:7], v[68:69]
	s_wait_loadcnt_dscnt 0x0
	v_lshrrev_b32_e32 v54, 6, v1
.LBB2_5:
	s_wait_xcnt 0x0
	s_or_b32 exec_lo, exec_lo, s1
.LBB2_6:
	s_and_not1_saveexec_b32 s0, s0
	s_cbranch_execz .LBB2_8
; %bb.7:
	flat_load_b64 v[6:7], v[2:3] offset:96
	v_mov_b64_e32 v[24:25], 0
	s_wait_loadcnt_dscnt 0x0
	v_lshlrev_b64_e32 v[54:55], 4, v[6:7]
	v_mov_b64_e32 v[6:7], v[4:5]
.LBB2_8:
	s_wait_xcnt 0x0
	s_or_b32 exec_lo, exec_lo, s0
	s_load_b32 s0, s[8:9], 0x0
	s_clause 0x2
	flat_load_b64 v[86:87], v[2:3] offset:104
	flat_load_u16 v13, v[2:3] offset:8
	flat_load_b32 v12, v[2:3] offset:4
	s_bfe_u32 s1, ttmp6, 0x4000c
	s_and_b32 s2, ttmp6, 15
	s_add_co_i32 s1, s1, 1
	s_getreg_b32 s3, hwreg(HW_REG_IB_STS2, 6, 4)
	s_mul_i32 s1, ttmp9, s1
	v_mov_b32_e32 v14, 0
	s_add_co_i32 s2, s2, s1
	s_cmp_eq_u32 s3, 0
	s_mov_b32 s1, 0
	s_cselect_b32 s2, ttmp9, s2
	v_mov_b64_e32 v[26:27], 0
	s_wait_kmcnt 0x0
	s_cmp_lt_u32 s2, s0
	s_cselect_b32 s0, 12, 18
	s_delay_alu instid0(SALU_CYCLE_1)
	s_add_nc_u64 s[2:3], s[8:9], s[0:1]
	flat_load_b128 v[8:11], v[2:3] offset:16
	global_load_u16 v1, v14, s[2:3]
	s_trap 2
	s_wait_xcnt 0x1
	ds_load_b32 v2, v0
	s_wait_dscnt 0x0
	v_cmp_gt_i32_e32 vcc_lo, 0, v2
	s_wait_xcnt 0x0
	v_readfirstlane_b32 s2, v2
	s_and_b32 vcc_lo, exec_lo, vcc_lo
	s_wait_loadcnt 0x2
	v_lshrrev_b64 v[14:15], 31, v[12:13]
	v_and_b32_e32 v12, 31, v0
	s_delay_alu instid0(VALU_DEP_1) | instskip(NEXT) | instid1(VALU_DEP_3)
	v_cmp_eq_u32_e64 s0, 0, v12
	v_and_b32_e32 v3, 3, v14
	s_delay_alu instid0(VALU_DEP_1)
	v_and_b32_e32 v13, 0xffff, v3
	s_cbranch_vccnz .LBB2_10
; %bb.9:
	s_trap 2
	ds_load_b64 v[14:15], v0
	s_mov_b32 s1, 1
	s_wait_dscnt 0x0
	v_readfirstlane_b32 s4, v14
	v_readfirstlane_b32 s5, v15
	flat_load_b64 v[2:3], v2, s[4:5] scale_offset
	s_wait_loadcnt_dscnt 0x0
	v_mad_nc_u64_u32 v[2:3], 0xa8, v13, v[2:3]
	s_clause 0x1
	flat_load_b64 v[32:33], v[2:3] offset:504
	flat_load_b64 v[34:35], v[2:3] offset:608
	v_add_nc_u64_e32 v[28:29], 0x1f8, v[2:3]
	s_wait_xcnt 0x0
	s_delay_alu instid0(VALU_DEP_1)
	v_dual_cndmask_b32 v3, 0, v29, s0 :: v_dual_cndmask_b32 v2, 0, v28, s0
	s_branch .LBB2_11
.LBB2_10:
	v_mov_b64_e32 v[28:29], 0
	v_mov_b64_e32 v[2:3], 0
                                        ; implicit-def: $vgpr34_vgpr35
                                        ; implicit-def: $vgpr32_vgpr33
.LBB2_11:
	s_trap 2
	ds_load_b32 v14, v0
	s_wait_dscnt 0x0
	v_cmp_gt_i32_e32 vcc_lo, 0, v14
	s_cbranch_vccnz .LBB2_13
; %bb.12:
	s_trap 2
	ds_load_b64 v[16:17], v0
	v_cmp_eq_u32_e32 vcc_lo, 0, v12
	s_wait_dscnt 0x0
	v_readfirstlane_b32 s4, v16
	v_readfirstlane_b32 s5, v17
	flat_load_b64 v[14:15], v14, s[4:5] scale_offset
	s_wait_loadcnt_dscnt 0x0
	v_mad_nc_u64_u32 v[26:27], 0xa8, v13, v[14:15]
	s_clause 0x1
	flat_load_b64 v[36:37], v[26:27]
	flat_load_b64 v[16:17], v[26:27] offset:104
	v_dual_cndmask_b32 v53, 0, v27 :: v_dual_cndmask_b32 v52, 0, v26
	s_branch .LBB2_14
.LBB2_13:
	v_mov_b64_e32 v[52:53], 0
                                        ; implicit-def: $vgpr16_vgpr17
                                        ; implicit-def: $vgpr36_vgpr37
.LBB2_14:
	s_wait_xcnt 0x2
	v_subrev_nc_u32_e32 v14, 32, v20
	v_cmp_gt_u32_e32 vcc_lo, s1, v12
	v_mov_b64_e32 v[12:13], 0
	v_mov_b64_e32 v[48:49], 0
                                        ; implicit-def: $vgpr38_vgpr39
	s_delay_alu instid0(VALU_DEP_4)
	v_cmp_ge_i32_e64 s0, v0, v14
	s_and_b32 s12, s0, vcc_lo
	s_wait_xcnt 0x0
	s_and_saveexec_b32 s0, s12
	s_cbranch_execz .LBB2_16
; %bb.15:
	s_clause 0x1
	flat_load_b64 v[48:49], v[2:3] offset:56
	flat_load_b64 v[38:39], v[2:3] offset:104
.LBB2_16:
	s_wait_xcnt 0x0
	s_or_b32 exec_lo, exec_lo, s0
	v_mov_b64_e32 v[50:51], 0
	v_cmp_gt_u32_e64 s0, s1, v0
                                        ; implicit-def: $vgpr64_vgpr65
	s_and_saveexec_b32 s1, s0
	s_cbranch_execz .LBB2_18
; %bb.17:
	flat_load_b64 v[50:51], v[52:53] offset:56
	s_wait_loadcnt_dscnt 0x0
	flat_load_b64 v[64:65], v[50:51] scope:SCOPE_SYS
	s_wait_loadcnt 0x0
	flat_load_b128 v[12:15], v[52:53] offset:96
.LBB2_18:
	s_wait_xcnt 0x0
	s_or_b32 exec_lo, exec_lo, s1
	v_mov_b64_e32 v[52:53], 0
	s_wait_loadcnt 0x0
	v_and_b32_e32 v30, 0xffff, v1
	s_mov_b32 s13, exec_lo
	v_cmpx_ne_u64_e32 0, v[6:7]
	s_cbranch_execnz .LBB2_34
; %bb.19:
	s_or_b32 exec_lo, exec_lo, s13
	s_and_saveexec_b32 s1, s12
	s_cbranch_execnz .LBB2_1024
.LBB2_20:
	s_or_b32 exec_lo, exec_lo, s1
	s_and_saveexec_b32 s1, s0
	s_cbranch_execz .LBB2_22
.LBB2_21:
	s_wait_dscnt 0x0
	flat_store_b64 v[26:27], v[14:15] offset:104
.LBB2_22:
	s_wait_xcnt 0x0
	s_or_b32 exec_lo, exec_lo, s1
	s_delay_alu instid0(SALU_CYCLE_1)
	s_mov_b32 s0, exec_lo
	v_cmpx_ne_u32_e32 32, v20
	s_cbranch_execz .LBB2_1031
; %bb.23:
	s_mov_b32 s1, exec_lo
	v_cmpx_ne_u32_e64 v20, v30
	s_xor_b32 s1, exec_lo, s1
	s_cbranch_execz .LBB2_1029
; %bb.24:
	v_and_b32_e32 v0, 31, v31
	s_mov_b32 s2, exec_lo
	s_delay_alu instid0(VALU_DEP_1)
	v_cmpx_eq_u32_e32 0, v0
	s_cbranch_execz .LBB2_1028
; %bb.25:
	s_mov_b32 s4, exec_lo
	s_mov_b32 s3, exec_lo
	v_mbcnt_lo_u32_b32 v0, s4, 0
	global_wb scope:SCOPE_DEV
	s_wait_storecnt 0x0
	s_wait_loadcnt_dscnt 0x0
	global_inv scope:SCOPE_DEV
	v_cmpx_eq_u32_e32 0, v0
	s_cbranch_execz .LBB2_27
; %bb.26:
	s_bcnt1_i32_b32 s4, s4
	s_delay_alu instid0(SALU_CYCLE_1)
	v_dual_mov_b32 v1, 0 :: v_dual_mov_b32 v0, s4
	s_wait_loadcnt 0x0
	ds_add_u64 v0, v[0:1]
	s_trap 2
.LBB2_27:
	s_or_b32 exec_lo, exec_lo, s3
	s_trap 2
	ds_load_b64 v[2:3], v0
	s_wait_dscnt 0x0
	v_dual_mov_b32 v1, 0 :: v_dual_lshrrev_b32 v0, 5, v20
	s_mov_b32 s3, exec_lo
	s_delay_alu instid0(VALU_DEP_1) | instskip(NEXT) | instid1(VALU_DEP_1)
	v_add_nc_u64_e32 v[0:1], v[52:53], v[0:1]
	v_cmpx_lt_u64_e64 v[2:3], v[0:1]
	s_cbranch_execz .LBB2_1027
; %bb.28:
	s_mov_b32 s4, 0
	s_mov_b32 s7, 0
                                        ; implicit-def: $sgpr5
                                        ; implicit-def: $sgpr6
	s_branch .LBB2_30
.LBB2_29:                               ;   in Loop: Header=BB2_30 Depth=1
	s_or_b32 exec_lo, exec_lo, s9
	s_delay_alu instid0(SALU_CYCLE_1) | instskip(NEXT) | instid1(SALU_CYCLE_1)
	s_and_b32 s8, exec_lo, s10
	s_or_b32 s4, s8, s4
	s_and_not1_b32 s5, s5, exec_lo
	s_and_b32 s8, s6, exec_lo
	s_delay_alu instid0(SALU_CYCLE_1)
	s_or_b32 s5, s5, s8
	s_and_not1_b32 exec_lo, exec_lo, s4
	s_cbranch_execz .LBB2_1025
.LBB2_30:                               ; =>This Inner Loop Header: Depth=1
	s_add_co_i32 s7, s7, 1
	s_delay_alu instid0(SALU_CYCLE_1) | instskip(SKIP_1) | instid1(SALU_CYCLE_1)
	s_cmp_lg_u32 s7, 0x2710
	s_cselect_b32 s8, -1, 0
	s_and_b32 vcc_lo, exec_lo, s8
	s_cbranch_vccz .LBB2_32
; %bb.31:                               ;   in Loop: Header=BB2_30 Depth=1
	s_mov_b32 s10, -1
	s_or_b32 s6, s6, exec_lo
	s_and_saveexec_b32 s9, s8
	s_cbranch_execz .LBB2_29
	s_branch .LBB2_33
.LBB2_32:                               ;   in Loop: Header=BB2_30 Depth=1
	s_trap 2
	ds_load_b64 v[2:3], v0
	s_and_not1_b32 s8, s8, exec_lo
	s_mov_b32 s7, 0
	s_wait_loadcnt_dscnt 0x0
	flat_load_b32 v2, v[2:3] scope:SCOPE_SYS
	s_wait_loadcnt_dscnt 0x0
	global_inv scope:SCOPE_SYS
	v_cmp_eq_u32_e32 vcc_lo, 0, v2
	s_and_b32 s9, vcc_lo, exec_lo
	s_delay_alu instid0(SALU_CYCLE_1)
	s_or_b32 s8, s8, s9
	s_mov_b32 s10, -1
	s_or_b32 s6, s6, exec_lo
	s_and_saveexec_b32 s9, s8
	s_cbranch_execz .LBB2_29
.LBB2_33:                               ;   in Loop: Header=BB2_30 Depth=1
	s_sleep 1
	s_trap 2
	ds_load_b64 v[2:3], v0
	s_wait_dscnt 0x0
	s_and_not1_b32 s6, s6, exec_lo
	v_cmp_ge_u64_e32 vcc_lo, v[2:3], v[0:1]
	s_or_not1_b32 s10, vcc_lo, exec_lo
	s_branch .LBB2_29
.LBB2_34:
	v_dual_mov_b32 v55, 0 :: v_dual_bitop2_b32 v1, 31, v31 bitop3:0x40
	v_add_nc_u64_e32 v[2:3], v[68:69], v[4:5]
	s_ashr_i32 s1, s2, 31
	s_ashr_i32 s11, s10, 31
	s_delay_alu instid0(VALU_DEP_2)
	v_mov_b32_e32 v85, v55
	v_cmp_eq_u32_e64 s5, 0, v1
	v_and_b32_e32 v1, 1, v86
	s_lshr_b32 s1, s1, 29
	v_add_nc_u64_e32 v[68:69], v[2:3], v[18:19]
	v_add_nc_u64_e32 v[2:3], v[24:25], v[10:11]
	v_dual_mov_b32 v83, v55 :: v_dual_lshlrev_b32 v84, 3, v0
	v_cmp_eq_u32_e64 s6, 1, v1
	v_dual_mov_b32 v1, v55 :: v_dual_mov_b32 v21, v55
	s_add_co_i32 s2, s2, s1
	v_mov_b64_e32 v[80:81], 0
	s_ashr_i32 s4, s2, 3
	s_ashr_i32 s14, s2, 7
	s_lshl_b64 s[2:3], s[10:11], 2
	v_cmp_ne_u64_e64 s1, 0, v[50:51]
	v_add_nc_u64_e32 v[70:71], s[2:3], v[22:23]
	s_wait_dscnt 0x0
	v_cmp_ne_u64_e64 s2, 0, v[12:13]
	v_add_nc_u64_e32 v[96:97], v[10:11], v[84:85]
	v_cmp_ne_u64_e64 s7, 0, v[48:49]
	v_add_nc_u64_e32 v[8:9], v[8:9], v[84:85]
	v_add_nc_u64_e32 v[98:99], v[2:3], v[84:85]
	v_lshlrev_b64_e32 v[102:103], 4, v[20:21]
	v_mov_b64_e32 v[52:53], 0
	v_and_b32_e32 v66, 0x1fffff0, v54
	v_dual_mov_b32 v67, v55 :: v_dual_lshrrev_b32 v82, 5, v20
	s_and_b32 s11, s4, -16
	v_cmp_ne_u32_e64 s3, 32, v20
	v_cmp_ne_u32_e64 s4, v20, v30
	v_dual_mov_b32 v87, v55 :: v_dual_lshlrev_b32 v86, 3, v20
	v_lshlrev_b32_e32 v56, 6, v20
	v_lshl_add_u64 v[100:101], v[0:1], 4, v[36:37]
	v_dual_mov_b32 v1, 1 :: v_dual_mov_b32 v21, 0
	s_cmp_gt_i32 s10, 2
	s_mov_b32 s15, 0
	s_cselect_b32 s16, -1, 0
	s_branch .LBB2_36
.LBB2_35:                               ;   in Loop: Header=BB2_36 Depth=1
	s_wait_xcnt 0x0
	s_or_b32 exec_lo, exec_lo, s8
	v_add_nc_u64_e32 v[80:81], v[80:81], v[66:67]
	v_add_nc_u64_e32 v[34:35], 1, v[34:35]
	;; [unrolled: 1-line block ×3, first 2 shown]
	s_delay_alu instid0(VALU_DEP_3) | instskip(SKIP_1) | instid1(SALU_CYCLE_1)
	v_cmp_ge_u64_e32 vcc_lo, v[80:81], v[6:7]
	s_or_b32 s15, vcc_lo, s15
	s_and_not1_b32 exec_lo, exec_lo, s15
	s_cbranch_execz .LBB2_1023
.LBB2_36:                               ; =>This Loop Header: Depth=1
                                        ;     Child Loop BB2_41 Depth 2
                                        ;     Child Loop BB2_60 Depth 2
	;; [unrolled: 1-line block ×5, first 2 shown]
                                        ;       Child Loop BB2_90 Depth 3
                                        ;       Child Loop BB2_109 Depth 3
	;; [unrolled: 1-line block ×3, first 2 shown]
                                        ;         Child Loop BB2_137 Depth 4
                                        ;       Child Loop BB2_553 Depth 3
                                        ;       Child Loop BB2_126 Depth 3
                                        ;     Child Loop BB2_569 Depth 2
                                        ;       Child Loop BB2_577 Depth 3
                                        ;     Child Loop BB2_1011 Depth 2
	s_wait_loadcnt_dscnt 0x0
	flat_load_b32 v19, v[70:71] offset:-4
	v_sub_nc_u64_e32 v[2:3], v[6:7], v[80:81]
	s_delay_alu instid0(VALU_DEP_1) | instskip(NEXT) | instid1(VALU_DEP_1)
	v_min_u64 v[2:3], v[66:67], v[2:3]
	v_lshl_add_u32 v3, v2, 1, 14
	s_delay_alu instid0(VALU_DEP_1)
	v_and_b32_e32 v58, 0x7fffff0, v3
	s_wait_xcnt 0x0
	s_and_saveexec_b32 s9, s1
	s_cbranch_execz .LBB2_52
; %bb.37:                               ;   in Loop: Header=BB2_36 Depth=1
	v_add_nc_u64_e32 v[4:5], 1, v[14:15]
	v_add_nc_u64_e32 v[112:113], 8, v[64:65]
	s_mov_b32 s17, exec_lo
	s_delay_alu instid0(VALU_DEP_1)
	v_cmpx_lt_u64_e64 v[112:113], v[4:5]
	s_cbranch_execz .LBB2_49
; %bb.38:                               ;   in Loop: Header=BB2_36 Depth=1
	s_mov_b32 s18, 0
	s_mov_b32 s22, 0
	v_cmp_eq_u32_e32 vcc_lo, 0, v21
                                        ; implicit-def: $sgpr19
                                        ; implicit-def: $sgpr20
                                        ; implicit-def: $sgpr21
	s_branch .LBB2_41
.LBB2_39:                               ;   in Loop: Header=BB2_41 Depth=2
	s_or_b32 exec_lo, exec_lo, s27
	s_delay_alu instid0(SALU_CYCLE_1)
	s_and_not1_b32 s8, s21, exec_lo
	s_and_b32 s21, s25, exec_lo
	s_and_not1_b32 s20, s20, exec_lo
	s_and_b32 s24, s24, exec_lo
	s_or_b32 s21, s8, s21
	s_or_b32 s20, s20, s24
.LBB2_40:                               ;   in Loop: Header=BB2_41 Depth=2
	s_or_b32 exec_lo, exec_lo, s23
	s_delay_alu instid0(SALU_CYCLE_1) | instskip(NEXT) | instid1(SALU_CYCLE_1)
	s_and_b32 s8, exec_lo, s20
	s_or_b32 s18, s8, s18
	s_and_not1_b32 s8, s19, exec_lo
	s_and_b32 s19, s21, exec_lo
	s_delay_alu instid0(SALU_CYCLE_1)
	s_or_b32 s19, s8, s19
	s_and_not1_b32 exec_lo, exec_lo, s18
	s_cbranch_execz .LBB2_46
.LBB2_41:                               ;   Parent Loop BB2_36 Depth=1
                                        ; =>  This Inner Loop Header: Depth=2
	s_sleep 1
	s_wait_loadcnt_dscnt 0x0
	flat_load_b64 v[64:65], v[50:51] scope:SCOPE_DEV
	v_mov_b32_e32 v21, 1
	s_or_b32 s21, s21, exec_lo
	s_or_b32 s20, s20, exec_lo
                                        ; implicit-def: $vgpr3
	s_wait_xcnt 0x0
	s_and_saveexec_b32 s23, vcc_lo
	s_cbranch_execz .LBB2_40
; %bb.42:                               ;   in Loop: Header=BB2_41 Depth=2
	s_add_co_i32 s22, s22, 1
	s_mov_b32 s24, -1
	s_cmp_lg_u32 s22, 0x2710
	s_mov_b32 s25, -1
	s_cselect_b32 s26, -1, 0
	s_cmp_eq_u32 s22, 0x2710
                                        ; implicit-def: $vgpr3
	s_cbranch_scc1 .LBB2_44
; %bb.43:                               ;   in Loop: Header=BB2_41 Depth=2
	v_mov_b32_e32 v21, 1
	s_and_saveexec_b32 s27, s26
	s_cbranch_execz .LBB2_39
	s_branch .LBB2_45
.LBB2_44:                               ;   in Loop: Header=BB2_41 Depth=2
	s_trap 2
	ds_load_b64 v[112:113], v0
	s_and_not1_b32 s22, s26, exec_lo
	s_mov_b32 s25, 0
	s_wait_storecnt 0x0
	s_wait_loadcnt_dscnt 0x0
	flat_load_b32 v3, v[112:113] scope:SCOPE_SYS
	s_wait_loadcnt_dscnt 0x0
	global_inv scope:SCOPE_SYS
	v_cmp_eq_u32_e64 s8, 0, v3
	s_and_b32 s8, s8, exec_lo
	s_delay_alu instid0(SALU_CYCLE_1)
	s_or_b32 s26, s22, s8
	s_mov_b32 s22, 0
	v_mov_b32_e32 v21, 1
	s_and_saveexec_b32 s27, s26
	s_cbranch_execz .LBB2_39
.LBB2_45:                               ;   in Loop: Header=BB2_41 Depth=2
	s_wait_loadcnt_dscnt 0x0
	v_add_nc_u64_e32 v[112:113], 8, v[64:65]
	v_mov_b32_e32 v21, 0
	s_or_b32 s25, s25, exec_lo
	s_delay_alu instid0(VALU_DEP_2)
	v_cmp_ge_u64_e64 s8, v[112:113], v[4:5]
	s_or_not1_b32 s24, s8, exec_lo
	s_branch .LBB2_39
.LBB2_46:                               ;   in Loop: Header=BB2_36 Depth=1
	s_or_b32 exec_lo, exec_lo, s18
	s_xor_b32 s8, s19, -1
	s_delay_alu instid0(SALU_CYCLE_1) | instskip(NEXT) | instid1(SALU_CYCLE_1)
	s_and_saveexec_b32 s18, s8
	s_xor_b32 s8, exec_lo, s18
	s_cbranch_execz .LBB2_48
; %bb.47:                               ;   in Loop: Header=BB2_36 Depth=1
	v_mov_b32_e32 v21, 1
	s_wait_storecnt 0x0
	s_wait_loadcnt_dscnt 0x0
	ds_store_b32 v0, v3
	s_trap 2
.LBB2_48:                               ;   in Loop: Header=BB2_36 Depth=1
	s_or_b32 exec_lo, exec_lo, s8
.LBB2_49:                               ;   in Loop: Header=BB2_36 Depth=1
	s_delay_alu instid0(SALU_CYCLE_1)
	s_or_b32 exec_lo, exec_lo, s17
	s_and_saveexec_b32 s8, s2
	s_cbranch_execz .LBB2_51
; %bb.50:                               ;   in Loop: Header=BB2_36 Depth=1
	v_and_b32_e32 v54, 0x7ffffff8, v14
	s_delay_alu instid0(VALU_DEP_1) | instskip(SKIP_1) | instid1(VALU_DEP_1)
	v_cmp_eq_u64_e32 vcc_lo, 0x7ffffff8, v[54:55]
	v_cndmask_b32_e64 v112, v58, s11, vcc_lo
	v_dual_ashrrev_i32 v113, 31, v112 :: v_dual_bitop2_b32 v3, 7, v14 bitop3:0x40
	s_delay_alu instid0(VALU_DEP_1)
	v_mad_nc_u64_u32 v[14:15], v3, 24, v[12:13]
	flat_store_b64 v[14:15], v[112:113] offset:8 scope:SCOPE_SYS
	s_wait_storecnt 0x0
.LBB2_51:                               ;   in Loop: Header=BB2_36 Depth=1
	s_wait_xcnt 0x0
	s_or_b32 exec_lo, exec_lo, s8
	v_mov_b64_e32 v[14:15], v[4:5]
.LBB2_52:                               ;   in Loop: Header=BB2_36 Depth=1
	s_or_b32 exec_lo, exec_lo, s9
	s_and_saveexec_b32 s8, s3
	s_cbranch_execz .LBB2_71
; %bb.53:                               ;   in Loop: Header=BB2_36 Depth=1
	s_and_saveexec_b32 s9, s4
	s_delay_alu instid0(SALU_CYCLE_1)
	s_xor_b32 s9, exec_lo, s9
	s_cbranch_execz .LBB2_68
; %bb.54:                               ;   in Loop: Header=BB2_36 Depth=1
	s_and_saveexec_b32 s17, s5
	s_cbranch_execz .LBB2_67
; %bb.55:                               ;   in Loop: Header=BB2_36 Depth=1
	s_mov_b32 s19, exec_lo
	s_mov_b32 s18, exec_lo
	v_mbcnt_lo_u32_b32 v3, s19, 0
	global_wb scope:SCOPE_DEV
	s_wait_storecnt 0x0
	s_wait_loadcnt_dscnt 0x0
	global_inv scope:SCOPE_DEV
	v_cmpx_eq_u32_e32 0, v3
	s_cbranch_execz .LBB2_57
; %bb.56:                               ;   in Loop: Header=BB2_36 Depth=1
	s_bcnt1_i32_b32 s19, s19
	s_delay_alu instid0(SALU_CYCLE_1)
	v_mov_b32_e32 v54, s19
	s_wait_loadcnt 0x0
	ds_add_u64 v0, v[54:55]
	s_trap 2
.LBB2_57:                               ;   in Loop: Header=BB2_36 Depth=1
	s_or_b32 exec_lo, exec_lo, s18
	s_trap 2
	ds_load_b64 v[4:5], v0
	s_wait_dscnt 0x0
	v_add_nc_u64_e32 v[52:53], v[52:53], v[82:83]
	s_mov_b32 s18, exec_lo
	s_delay_alu instid0(VALU_DEP_1)
	v_cmpx_lt_u64_e64 v[4:5], v[52:53]
	s_cbranch_execz .LBB2_66
; %bb.58:                               ;   in Loop: Header=BB2_36 Depth=1
	s_mov_b32 s19, 0
	s_mov_b32 s22, 0
                                        ; implicit-def: $sgpr20
                                        ; implicit-def: $sgpr21
	s_branch .LBB2_60
.LBB2_59:                               ;   in Loop: Header=BB2_60 Depth=2
	s_or_b32 exec_lo, exec_lo, s24
	s_delay_alu instid0(SALU_CYCLE_1) | instskip(NEXT) | instid1(SALU_CYCLE_1)
	s_and_b32 s23, exec_lo, s25
	s_or_b32 s19, s23, s19
	s_and_not1_b32 s20, s20, exec_lo
	s_and_b32 s23, s21, exec_lo
	s_delay_alu instid0(SALU_CYCLE_1)
	s_or_b32 s20, s20, s23
	s_and_not1_b32 exec_lo, exec_lo, s19
	s_cbranch_execz .LBB2_64
.LBB2_60:                               ;   Parent Loop BB2_36 Depth=1
                                        ; =>  This Inner Loop Header: Depth=2
	s_add_co_i32 s22, s22, 1
	s_delay_alu instid0(SALU_CYCLE_1) | instskip(SKIP_1) | instid1(SALU_CYCLE_1)
	s_cmp_lg_u32 s22, 0x2710
	s_cselect_b32 s23, -1, 0
	s_and_b32 vcc_lo, exec_lo, s23
	s_cbranch_vccz .LBB2_62
; %bb.61:                               ;   in Loop: Header=BB2_60 Depth=2
	s_mov_b32 s25, -1
	s_or_b32 s21, s21, exec_lo
	s_and_saveexec_b32 s24, s23
	s_cbranch_execz .LBB2_59
	s_branch .LBB2_63
.LBB2_62:                               ;   in Loop: Header=BB2_60 Depth=2
	s_trap 2
	ds_load_b64 v[4:5], v0
	s_and_not1_b32 s23, s23, exec_lo
	s_mov_b32 s22, 0
	s_wait_loadcnt_dscnt 0x0
	flat_load_b32 v3, v[4:5] scope:SCOPE_SYS
	s_wait_loadcnt_dscnt 0x0
	global_inv scope:SCOPE_SYS
	v_cmp_eq_u32_e32 vcc_lo, 0, v3
	s_and_b32 s24, vcc_lo, exec_lo
	s_delay_alu instid0(SALU_CYCLE_1)
	s_or_b32 s23, s23, s24
	s_mov_b32 s25, -1
	s_or_b32 s21, s21, exec_lo
	s_and_saveexec_b32 s24, s23
	s_cbranch_execz .LBB2_59
.LBB2_63:                               ;   in Loop: Header=BB2_60 Depth=2
	s_sleep 1
	s_trap 2
	ds_load_b64 v[4:5], v0
	s_wait_dscnt 0x0
	s_and_not1_b32 s21, s21, exec_lo
	v_cmp_ge_u64_e32 vcc_lo, v[4:5], v[52:53]
	s_or_not1_b32 s25, vcc_lo, exec_lo
	s_branch .LBB2_59
.LBB2_64:                               ;   in Loop: Header=BB2_36 Depth=1
	s_or_b32 exec_lo, exec_lo, s19
	s_and_saveexec_b32 s19, s20
	s_delay_alu instid0(SALU_CYCLE_1)
	s_xor_b32 s19, exec_lo, s19
	s_cbranch_execz .LBB2_66
; %bb.65:                               ;   in Loop: Header=BB2_36 Depth=1
	ds_store_b32 v0, v1
	s_trap 2
.LBB2_66:                               ;   in Loop: Header=BB2_36 Depth=1
	s_or_b32 exec_lo, exec_lo, s18
	;;#ASMSTART
	s_wakeup
	;;#ASMEND
.LBB2_67:                               ;   in Loop: Header=BB2_36 Depth=1
	s_or_b32 exec_lo, exec_lo, s17
.LBB2_68:                               ;   in Loop: Header=BB2_36 Depth=1
	s_and_not1_saveexec_b32 s9, s9
	s_cbranch_execz .LBB2_70
; %bb.69:                               ;   in Loop: Header=BB2_36 Depth=1
	global_wb scope:SCOPE_DEV
	s_wait_storecnt 0x0
	s_wait_loadcnt_dscnt 0x0
	global_inv scope:SCOPE_DEV
	s_barrier_signal -1
	s_barrier_wait -1
.LBB2_70:                               ;   in Loop: Header=BB2_36 Depth=1
	s_or_b32 exec_lo, exec_lo, s9
.LBB2_71:                               ;   in Loop: Header=BB2_36 Depth=1
	s_delay_alu instid0(SALU_CYCLE_1) | instskip(SKIP_2) | instid1(VALU_DEP_2)
	s_or_b32 exec_lo, exec_lo, s8
	v_dual_mov_b32 v18, v0 :: v_dual_sub_nc_u32 v57, v2, v84
	v_dual_add_nc_u32 v3, 1, v16 :: v_dual_bitop2_b32 v116, 7, v16 bitop3:0x40
	v_cmp_lt_i32_e64 s8, 0, v57
	s_and_saveexec_b32 s9, s8
	s_cbranch_execz .LBB2_79
; %bb.72:                               ;   in Loop: Header=BB2_36 Depth=1
	s_wait_loadcnt_dscnt 0x0
	v_mad_nc_u64_u32 v[112:113], v68, v19, v[98:99]
	v_mul_lo_u32 v4, v116, s14
	v_mul_lo_u32 v18, v68, v19
	v_mov_b32_e32 v117, v57
	s_mov_b32 s17, 0
	s_delay_alu instid0(VALU_DEP_4) | instskip(NEXT) | instid1(VALU_DEP_4)
	v_mad_u32 v2, v69, v19, v113
	v_dual_ashrrev_i32 v19, 31, v19 :: v_dual_ashrrev_i32 v5, 31, v4
	s_delay_alu instid0(VALU_DEP_1) | instskip(NEXT) | instid1(VALU_DEP_2)
	v_lshl_add_u64 v[114:115], v[4:5], 4, v[100:101]
	v_mad_u32 v113, v68, v19, v2
	v_add_lshl_u32 v19, v98, v18, 3
	v_mov_b32_e32 v18, v0
	s_branch .LBB2_74
.LBB2_73:                               ;   in Loop: Header=BB2_74 Depth=2
	s_wait_xcnt 0x0
	s_or_b32 exec_lo, exec_lo, s18
	s_wait_loadcnt 0x0
	v_alignbit_b32 v2, v119, v2, v19
	v_alignbit_b32 v4, v118, v119, v19
	v_dual_mov_b32 v5, v3 :: v_dual_sub_nc_u32 v117, v117, v86
	v_add_nc_u64_e32 v[112:113], v[112:113], v[86:87]
	v_add_nc_u32_e32 v18, v18, v20
	v_add_nc_u32_e32 v19, v19, v56
	global_store_b128 v[114:115], v[2:5], off
	v_cmp_gt_i32_e32 vcc_lo, 1, v117
	s_wait_xcnt 0x0
	v_add_nc_u64_e32 v[114:115], v[114:115], v[102:103]
	s_or_b32 s17, vcc_lo, s17
	s_delay_alu instid0(SALU_CYCLE_1)
	s_and_not1_b32 exec_lo, exec_lo, s17
	s_cbranch_execz .LBB2_78
.LBB2_74:                               ;   Parent Loop BB2_36 Depth=1
                                        ; =>  This Inner Loop Header: Depth=2
	s_delay_alu instid0(VALU_DEP_3)
	v_dual_mov_b32 v5, v113 :: v_dual_bitop2_b32 v4, -4, v112 bitop3:0x40
	v_min_u32_e32 v54, 8, v117
	v_dual_mov_b32 v119, 0 :: v_dual_bitop2_b32 v118, 3, v112 bitop3:0x40
	s_mov_b32 s18, exec_lo
	global_load_b32 v2, v[4:5], off th:TH_LOAD_NT
	v_dual_add_nc_u32 v54, v118, v54 :: v_dual_mov_b32 v118, 0
	s_wait_xcnt 0x0
	s_delay_alu instid0(VALU_DEP_1)
	v_cmpx_lt_u32_e32 4, v54
	s_cbranch_execz .LBB2_76
; %bb.75:                               ;   in Loop: Header=BB2_74 Depth=2
	global_load_b32 v119, v[4:5], off offset:4 th:TH_LOAD_NT
.LBB2_76:                               ;   in Loop: Header=BB2_74 Depth=2
	s_wait_xcnt 0x0
	s_or_b32 exec_lo, exec_lo, s18
	s_delay_alu instid0(SALU_CYCLE_1)
	s_mov_b32 s18, exec_lo
	v_cmpx_lt_u64_e32 8, v[54:55]
	s_cbranch_execz .LBB2_73
; %bb.77:                               ;   in Loop: Header=BB2_74 Depth=2
	global_load_b32 v118, v[4:5], off offset:8 th:TH_LOAD_NT
	s_branch .LBB2_73
.LBB2_78:                               ;   in Loop: Header=BB2_36 Depth=1
	s_or_b32 exec_lo, exec_lo, s17
.LBB2_79:                               ;   in Loop: Header=BB2_36 Depth=1
	s_delay_alu instid0(SALU_CYCLE_1) | instskip(SKIP_2) | instid1(VALU_DEP_2)
	s_or_b32 exec_lo, exec_lo, s9
	v_and_b32_e32 v54, 0x7ffffff8, v16
	v_cmp_gt_i32_e64 s9, s14, v18
	v_cmp_eq_u64_e32 vcc_lo, 0x7ffffff8, v[54:55]
	s_and_b32 s17, vcc_lo, s9
	s_delay_alu instid0(SALU_CYCLE_1)
	s_and_saveexec_b32 s9, s17
	s_cbranch_execz .LBB2_82
; %bb.80:                               ;   in Loop: Header=BB2_36 Depth=1
	v_mul_lo_u32 v4, v116, s14
	v_mov_b32_e32 v2, v55
	s_mov_b32 s17, 0
	s_wait_loadcnt_dscnt 0x0
	s_delay_alu instid0(VALU_DEP_2) | instskip(NEXT) | instid1(VALU_DEP_1)
	v_dual_ashrrev_i32 v19, 31, v18 :: v_dual_ashrrev_i32 v5, 31, v4
	v_lshlrev_b64_e32 v[4:5], 4, v[4:5]
	s_delay_alu instid0(VALU_DEP_1) | instskip(NEXT) | instid1(VALU_DEP_1)
	v_lshl_add_u64 v[4:5], v[18:19], 4, v[4:5]
	v_add_nc_u64_e32 v[112:113], v[36:37], v[4:5]
.LBB2_81:                               ;   Parent Loop BB2_36 Depth=1
                                        ; =>  This Inner Loop Header: Depth=2
	v_dual_mov_b32 v4, v2 :: v_dual_mov_b32 v5, v3
	v_add_nc_u32_e32 v18, v18, v20
	global_store_b128 v[112:113], v[2:5], off
	v_cmp_le_i32_e32 vcc_lo, s14, v18
	s_wait_xcnt 0x0
	v_add_nc_u64_e32 v[112:113], v[112:113], v[102:103]
	s_or_b32 s17, vcc_lo, s17
	s_delay_alu instid0(SALU_CYCLE_1)
	s_and_not1_b32 exec_lo, exec_lo, s17
	s_cbranch_execnz .LBB2_81
.LBB2_82:                               ;   in Loop: Header=BB2_36 Depth=1
	s_or_b32 exec_lo, exec_lo, s9
	v_add_nc_u64_e32 v[112:113], v[80:81], v[24:25]
	v_add_nc_u64_e32 v[114:115], 1, v[16:17]
	s_and_not1_b32 vcc_lo, exec_lo, s16
	s_cbranch_vccnz .LBB2_564
; %bb.83:                               ;   in Loop: Header=BB2_36 Depth=1
	s_delay_alu instid0(VALU_DEP_2)
	v_add_nc_u64_e32 v[116:117], v[96:97], v[112:113]
	v_add_nc_u16 v59, v16, 1
	s_mov_b32 s17, 2
	s_branch .LBB2_85
.LBB2_84:                               ;   in Loop: Header=BB2_85 Depth=2
	s_or_b32 exec_lo, exec_lo, s9
	v_add_nc_u64_e32 v[34:35], 1, v[34:35]
	v_add_nc_u64_e32 v[114:115], 1, v[114:115]
	v_add_nc_u16 v59, v59, 1
	s_add_co_i32 s17, s17, 1
	s_delay_alu instid0(SALU_CYCLE_1)
	s_cmp_eq_u32 s17, s10
	s_cbranch_scc1 .LBB2_564
.LBB2_85:                               ;   Parent Loop BB2_36 Depth=1
                                        ; =>  This Loop Header: Depth=2
                                        ;       Child Loop BB2_90 Depth 3
                                        ;       Child Loop BB2_109 Depth 3
	;; [unrolled: 1-line block ×3, first 2 shown]
                                        ;         Child Loop BB2_137 Depth 4
                                        ;       Child Loop BB2_553 Depth 3
                                        ;       Child Loop BB2_126 Depth 3
	s_sub_co_i32 s9, s10, s17
	v_readfirstlane_b32 s18, v22
	v_mov_b32_e32 v2, s9
	v_readfirstlane_b32 s19, v23
	flat_load_b32 v4, v2, s[18:19] scale_offset
	s_wait_xcnt 0x0
	s_and_saveexec_b32 s18, s1
	s_cbranch_execz .LBB2_101
; %bb.86:                               ;   in Loop: Header=BB2_85 Depth=2
	v_add_nc_u64_e32 v[2:3], 1, v[14:15]
	s_wait_loadcnt_dscnt 0x101
	v_add_nc_u64_e32 v[16:17], 8, v[64:65]
	s_mov_b32 s19, exec_lo
	s_delay_alu instid0(VALU_DEP_1)
	v_cmpx_lt_u64_e64 v[16:17], v[2:3]
	s_cbranch_execz .LBB2_98
; %bb.87:                               ;   in Loop: Header=BB2_85 Depth=2
	s_mov_b32 s20, 0
	s_mov_b32 s24, 0
	v_cmp_eq_u32_e32 vcc_lo, 0, v21
                                        ; implicit-def: $sgpr21
                                        ; implicit-def: $sgpr22
                                        ; implicit-def: $sgpr23
	s_branch .LBB2_90
.LBB2_88:                               ;   in Loop: Header=BB2_90 Depth=3
	s_or_b32 exec_lo, exec_lo, s29
	s_delay_alu instid0(SALU_CYCLE_1)
	s_and_not1_b32 s9, s23, exec_lo
	s_and_b32 s23, s27, exec_lo
	s_and_not1_b32 s22, s22, exec_lo
	s_and_b32 s26, s26, exec_lo
	s_or_b32 s23, s9, s23
	s_or_b32 s22, s22, s26
.LBB2_89:                               ;   in Loop: Header=BB2_90 Depth=3
	s_or_b32 exec_lo, exec_lo, s25
	s_delay_alu instid0(SALU_CYCLE_1) | instskip(NEXT) | instid1(SALU_CYCLE_1)
	s_and_b32 s9, exec_lo, s22
	s_or_b32 s20, s9, s20
	s_and_not1_b32 s9, s21, exec_lo
	s_and_b32 s21, s23, exec_lo
	s_delay_alu instid0(SALU_CYCLE_1)
	s_or_b32 s21, s9, s21
	s_and_not1_b32 exec_lo, exec_lo, s20
	s_cbranch_execz .LBB2_95
.LBB2_90:                               ;   Parent Loop BB2_36 Depth=1
                                        ;     Parent Loop BB2_85 Depth=2
                                        ; =>    This Inner Loop Header: Depth=3
	s_sleep 1
	s_wait_loadcnt_dscnt 0x0
	flat_load_b64 v[64:65], v[50:51] scope:SCOPE_DEV
	v_mov_b32_e32 v21, 1
	s_or_b32 s23, s23, exec_lo
	s_or_b32 s22, s22, exec_lo
                                        ; implicit-def: $vgpr5
	s_wait_xcnt 0x0
	s_and_saveexec_b32 s25, vcc_lo
	s_cbranch_execz .LBB2_89
; %bb.91:                               ;   in Loop: Header=BB2_90 Depth=3
	s_add_co_i32 s24, s24, 1
	s_mov_b32 s26, -1
	s_cmp_lg_u32 s24, 0x2710
	s_mov_b32 s27, -1
	s_cselect_b32 s28, -1, 0
	s_cmp_eq_u32 s24, 0x2710
                                        ; implicit-def: $vgpr5
	s_cbranch_scc1 .LBB2_93
; %bb.92:                               ;   in Loop: Header=BB2_90 Depth=3
	v_mov_b32_e32 v21, 1
	s_and_saveexec_b32 s29, s28
	s_cbranch_execz .LBB2_88
	s_branch .LBB2_94
.LBB2_93:                               ;   in Loop: Header=BB2_90 Depth=3
	s_trap 2
	ds_load_b64 v[16:17], v0
	s_and_not1_b32 s24, s28, exec_lo
	s_mov_b32 s27, 0
	s_wait_storecnt 0x0
	s_wait_loadcnt_dscnt 0x0
	flat_load_b32 v5, v[16:17] scope:SCOPE_SYS
	s_wait_loadcnt_dscnt 0x0
	global_inv scope:SCOPE_SYS
	v_cmp_eq_u32_e64 s9, 0, v5
	s_and_b32 s9, s9, exec_lo
	s_delay_alu instid0(SALU_CYCLE_1)
	s_or_b32 s28, s24, s9
	s_mov_b32 s24, 0
	v_mov_b32_e32 v21, 1
	s_and_saveexec_b32 s29, s28
	s_cbranch_execz .LBB2_88
.LBB2_94:                               ;   in Loop: Header=BB2_90 Depth=3
	s_wait_loadcnt_dscnt 0x0
	v_add_nc_u64_e32 v[16:17], 8, v[64:65]
	v_mov_b32_e32 v21, 0
	s_or_b32 s27, s27, exec_lo
	s_delay_alu instid0(VALU_DEP_2)
	v_cmp_ge_u64_e64 s9, v[16:17], v[2:3]
	s_or_not1_b32 s26, s9, exec_lo
	s_branch .LBB2_88
.LBB2_95:                               ;   in Loop: Header=BB2_85 Depth=2
	s_or_b32 exec_lo, exec_lo, s20
	s_xor_b32 s9, s21, -1
	s_delay_alu instid0(SALU_CYCLE_1) | instskip(NEXT) | instid1(SALU_CYCLE_1)
	s_and_saveexec_b32 s20, s9
	s_xor_b32 s9, exec_lo, s20
	s_cbranch_execz .LBB2_97
; %bb.96:                               ;   in Loop: Header=BB2_85 Depth=2
	v_mov_b32_e32 v21, 1
	s_wait_storecnt 0x0
	s_wait_loadcnt_dscnt 0x0
	ds_store_b32 v0, v5
	s_trap 2
.LBB2_97:                               ;   in Loop: Header=BB2_85 Depth=2
	s_or_b32 exec_lo, exec_lo, s9
.LBB2_98:                               ;   in Loop: Header=BB2_85 Depth=2
	s_delay_alu instid0(SALU_CYCLE_1)
	s_or_b32 exec_lo, exec_lo, s19
	s_and_saveexec_b32 s9, s2
	s_cbranch_execz .LBB2_100
; %bb.99:                               ;   in Loop: Header=BB2_85 Depth=2
	v_and_b32_e32 v54, 0x7ffffff8, v14
	s_delay_alu instid0(VALU_DEP_1) | instskip(SKIP_1) | instid1(VALU_DEP_1)
	v_cmp_eq_u64_e32 vcc_lo, 0x7ffffff8, v[54:55]
	v_cndmask_b32_e64 v16, v58, s11, vcc_lo
	v_dual_ashrrev_i32 v17, 31, v16 :: v_dual_bitop2_b32 v5, 7, v14 bitop3:0x40
	s_delay_alu instid0(VALU_DEP_1)
	v_mad_nc_u64_u32 v[14:15], v5, 24, v[12:13]
	flat_store_b64 v[14:15], v[16:17] offset:8 scope:SCOPE_SYS
	s_wait_storecnt 0x0
.LBB2_100:                              ;   in Loop: Header=BB2_85 Depth=2
	s_wait_xcnt 0x0
	s_or_b32 exec_lo, exec_lo, s9
	v_mov_b64_e32 v[14:15], v[2:3]
.LBB2_101:                              ;   in Loop: Header=BB2_85 Depth=2
	s_or_b32 exec_lo, exec_lo, s18
	s_and_saveexec_b32 s9, s3
	s_cbranch_execz .LBB2_120
; %bb.102:                              ;   in Loop: Header=BB2_85 Depth=2
	s_and_saveexec_b32 s18, s4
	s_delay_alu instid0(SALU_CYCLE_1)
	s_xor_b32 s18, exec_lo, s18
	s_cbranch_execz .LBB2_117
; %bb.103:                              ;   in Loop: Header=BB2_85 Depth=2
	s_and_saveexec_b32 s19, s5
	s_cbranch_execz .LBB2_116
; %bb.104:                              ;   in Loop: Header=BB2_85 Depth=2
	s_mov_b32 s21, exec_lo
	s_mov_b32 s20, exec_lo
	v_mbcnt_lo_u32_b32 v2, s21, 0
	global_wb scope:SCOPE_DEV
	s_wait_storecnt 0x0
	s_wait_loadcnt_dscnt 0x0
	global_inv scope:SCOPE_DEV
	v_cmpx_eq_u32_e32 0, v2
	s_cbranch_execz .LBB2_106
; %bb.105:                              ;   in Loop: Header=BB2_85 Depth=2
	s_bcnt1_i32_b32 s21, s21
	s_delay_alu instid0(SALU_CYCLE_1)
	v_mov_b32_e32 v54, s21
	s_wait_loadcnt 0x0
	ds_add_u64 v0, v[54:55]
	s_trap 2
.LBB2_106:                              ;   in Loop: Header=BB2_85 Depth=2
	s_or_b32 exec_lo, exec_lo, s20
	s_trap 2
	ds_load_b64 v[2:3], v0
	s_wait_dscnt 0x0
	v_add_nc_u64_e32 v[52:53], v[52:53], v[82:83]
	s_mov_b32 s20, exec_lo
	s_delay_alu instid0(VALU_DEP_1)
	v_cmpx_lt_u64_e64 v[2:3], v[52:53]
	s_cbranch_execz .LBB2_115
; %bb.107:                              ;   in Loop: Header=BB2_85 Depth=2
	s_mov_b32 s21, 0
	s_mov_b32 s24, 0
                                        ; implicit-def: $sgpr22
                                        ; implicit-def: $sgpr23
	s_branch .LBB2_109
.LBB2_108:                              ;   in Loop: Header=BB2_109 Depth=3
	s_or_b32 exec_lo, exec_lo, s26
	s_delay_alu instid0(SALU_CYCLE_1) | instskip(NEXT) | instid1(SALU_CYCLE_1)
	s_and_b32 s25, exec_lo, s27
	s_or_b32 s21, s25, s21
	s_and_not1_b32 s22, s22, exec_lo
	s_and_b32 s25, s23, exec_lo
	s_delay_alu instid0(SALU_CYCLE_1)
	s_or_b32 s22, s22, s25
	s_and_not1_b32 exec_lo, exec_lo, s21
	s_cbranch_execz .LBB2_113
.LBB2_109:                              ;   Parent Loop BB2_36 Depth=1
                                        ;     Parent Loop BB2_85 Depth=2
                                        ; =>    This Inner Loop Header: Depth=3
	s_add_co_i32 s24, s24, 1
	s_delay_alu instid0(SALU_CYCLE_1) | instskip(SKIP_1) | instid1(SALU_CYCLE_1)
	s_cmp_lg_u32 s24, 0x2710
	s_cselect_b32 s25, -1, 0
	s_and_b32 vcc_lo, exec_lo, s25
	s_cbranch_vccz .LBB2_111
; %bb.110:                              ;   in Loop: Header=BB2_109 Depth=3
	s_mov_b32 s27, -1
	s_or_b32 s23, s23, exec_lo
	s_and_saveexec_b32 s26, s25
	s_cbranch_execz .LBB2_108
	s_branch .LBB2_112
.LBB2_111:                              ;   in Loop: Header=BB2_109 Depth=3
	s_trap 2
	ds_load_b64 v[2:3], v0
	s_and_not1_b32 s25, s25, exec_lo
	s_mov_b32 s24, 0
	s_wait_loadcnt_dscnt 0x0
	flat_load_b32 v2, v[2:3] scope:SCOPE_SYS
	s_wait_loadcnt_dscnt 0x0
	global_inv scope:SCOPE_SYS
	v_cmp_eq_u32_e32 vcc_lo, 0, v2
	s_and_b32 s26, vcc_lo, exec_lo
	s_delay_alu instid0(SALU_CYCLE_1)
	s_or_b32 s25, s25, s26
	s_mov_b32 s27, -1
	s_or_b32 s23, s23, exec_lo
	s_and_saveexec_b32 s26, s25
	s_cbranch_execz .LBB2_108
.LBB2_112:                              ;   in Loop: Header=BB2_109 Depth=3
	s_sleep 1
	s_trap 2
	ds_load_b64 v[2:3], v0
	s_wait_dscnt 0x0
	s_and_not1_b32 s23, s23, exec_lo
	v_cmp_ge_u64_e32 vcc_lo, v[2:3], v[52:53]
	s_or_not1_b32 s27, vcc_lo, exec_lo
	s_branch .LBB2_108
.LBB2_113:                              ;   in Loop: Header=BB2_85 Depth=2
	s_or_b32 exec_lo, exec_lo, s21
	s_and_saveexec_b32 s21, s22
	s_delay_alu instid0(SALU_CYCLE_1)
	s_xor_b32 s21, exec_lo, s21
	s_cbranch_execz .LBB2_115
; %bb.114:                              ;   in Loop: Header=BB2_85 Depth=2
	ds_store_b32 v0, v1
	s_trap 2
.LBB2_115:                              ;   in Loop: Header=BB2_85 Depth=2
	s_or_b32 exec_lo, exec_lo, s20
	;;#ASMSTART
	s_wakeup
	;;#ASMEND
.LBB2_116:                              ;   in Loop: Header=BB2_85 Depth=2
	s_or_b32 exec_lo, exec_lo, s19
.LBB2_117:                              ;   in Loop: Header=BB2_85 Depth=2
	s_and_not1_saveexec_b32 s18, s18
	s_cbranch_execz .LBB2_119
; %bb.118:                              ;   in Loop: Header=BB2_85 Depth=2
	global_wb scope:SCOPE_DEV
	s_wait_storecnt 0x0
	s_wait_loadcnt_dscnt 0x0
	global_inv scope:SCOPE_DEV
	s_barrier_signal -1
	s_barrier_wait -1
.LBB2_119:                              ;   in Loop: Header=BB2_85 Depth=2
	s_or_b32 exec_lo, exec_lo, s18
.LBB2_120:                              ;   in Loop: Header=BB2_85 Depth=2
	s_delay_alu instid0(SALU_CYCLE_1)
	s_or_b32 exec_lo, exec_lo, s9
	v_dual_mov_b32 v54, v0 :: v_dual_add_nc_u32 v3, 1, v114
	s_and_saveexec_b32 s18, s8
	s_cbranch_execnz .LBB2_127
; %bb.121:                              ;   in Loop: Header=BB2_85 Depth=2
	s_or_b32 exec_lo, exec_lo, s18
	s_and_saveexec_b32 s9, s3
	s_cbranch_execnz .LBB2_546
.LBB2_122:                              ;   in Loop: Header=BB2_85 Depth=2
	s_or_b32 exec_lo, exec_lo, s9
	s_and_saveexec_b32 s9, s7
	s_cbranch_execz .LBB2_124
.LBB2_123:                              ;   in Loop: Header=BB2_85 Depth=2
	v_add_nc_u64_e32 v[38:39], 1, v[38:39]
	global_wb scope:SCOPE_SYS
	s_wait_storecnt 0x0
	s_wait_loadcnt_dscnt 0x0
	flat_store_b64 v[48:49], v[38:39] scope:SCOPE_SYS
.LBB2_124:                              ;   in Loop: Header=BB2_85 Depth=2
	s_wait_xcnt 0x0
	s_or_b32 exec_lo, exec_lo, s9
	s_wait_loadcnt_dscnt 0x0
	v_and_b32_e32 v4, 0x7ffffff8, v114
	v_mov_b32_e32 v5, v55
	v_cmp_gt_i32_e64 s9, s14, v54
	s_delay_alu instid0(VALU_DEP_2) | instskip(SKIP_1) | instid1(SALU_CYCLE_1)
	v_cmp_eq_u64_e32 vcc_lo, 0x7ffffff8, v[4:5]
	s_and_b32 s18, vcc_lo, s9
	s_and_saveexec_b32 s9, s18
	s_cbranch_execz .LBB2_84
; %bb.125:                              ;   in Loop: Header=BB2_85 Depth=2
	v_dual_ashrrev_i32 v17, 31, v54 :: v_dual_bitop2_b32 v2, 7, v59 bitop3:0x40
	v_mov_b32_e32 v16, v54
	s_mov_b32 s18, 0
	s_delay_alu instid0(VALU_DEP_2) | instskip(NEXT) | instid1(VALU_DEP_1)
	v_mul_lo_u32 v4, s14, v2
	v_dual_mov_b32 v2, v55 :: v_dual_ashrrev_i32 v5, 31, v4
	s_delay_alu instid0(VALU_DEP_1) | instskip(NEXT) | instid1(VALU_DEP_1)
	v_lshlrev_b64_e32 v[4:5], 4, v[4:5]
	v_lshl_add_u64 v[4:5], v[16:17], 4, v[4:5]
	s_delay_alu instid0(VALU_DEP_1)
	v_add_nc_u64_e32 v[16:17], v[36:37], v[4:5]
.LBB2_126:                              ;   Parent Loop BB2_36 Depth=1
                                        ;     Parent Loop BB2_85 Depth=2
                                        ; =>    This Inner Loop Header: Depth=3
	s_delay_alu instid0(VALU_DEP_4)
	v_dual_mov_b32 v4, v2 :: v_dual_mov_b32 v5, v3
	v_add_nc_u32_e32 v54, v54, v20
	global_store_b128 v[16:17], v[2:5], off
	v_cmp_le_i32_e32 vcc_lo, s14, v54
	s_wait_xcnt 0x0
	v_add_nc_u64_e32 v[16:17], v[16:17], v[102:103]
	s_or_b32 s18, vcc_lo, s18
	s_delay_alu instid0(SALU_CYCLE_1)
	s_and_not1_b32 exec_lo, exec_lo, s18
	s_cbranch_execnz .LBB2_126
	s_branch .LBB2_84
.LBB2_127:                              ;   in Loop: Header=BB2_85 Depth=2
	v_and_b32_e32 v2, 7, v34
	s_wait_loadcnt_dscnt 0x0
	v_mad_nc_u64_u32 v[118:119], v68, v4, v[116:117]
	v_dual_add_nc_u32 v60, 1, v34 :: v_dual_mov_b32 v54, v0
	s_mov_b32 s19, 0
	v_mul_lo_u32 v16, v2, s14
	v_dual_mov_b32 v61, v57 :: v_dual_bitop2_b32 v5, 7, v114 bitop3:0x40
	s_delay_alu instid0(VALU_DEP_4) | instskip(SKIP_1) | instid1(VALU_DEP_4)
	v_mad_u32 v2, v69, v4, v119
	v_ashrrev_i32_e32 v4, 31, v4
	v_ashrrev_i32_e32 v17, 31, v16
	s_delay_alu instid0(VALU_DEP_4) | instskip(NEXT) | instid1(VALU_DEP_2)
	v_mul_lo_u32 v18, v5, s14
	v_lshl_add_u64 v[40:41], v[16:17], 4, v[32:33]
	s_delay_alu instid0(VALU_DEP_4) | instskip(NEXT) | instid1(VALU_DEP_3)
	v_mad_u32 v119, v68, v4, v2
	v_ashrrev_i32_e32 v19, 31, v18
	s_delay_alu instid0(VALU_DEP_1)
	v_lshl_add_u64 v[42:43], v[18:19], 4, v[36:37]
	s_branch .LBB2_129
.LBB2_128:                              ;   in Loop: Header=BB2_129 Depth=3
	s_or_b32 exec_lo, exec_lo, s9
	v_dual_lshlrev_b32 v5, 8, v62 :: v_dual_lshlrev_b32 v17, 8, v72
	v_dual_lshlrev_b32 v16, 16, v46 :: v_dual_lshlrev_b32 v18, 16, v44
	;; [unrolled: 1-line block ×3, first 2 shown]
	v_sub_nc_u32_e32 v61, v61, v86
	s_delay_alu instid0(VALU_DEP_3) | instskip(NEXT) | instid1(VALU_DEP_4)
	v_or3_b32 v2, v5, v2, v16
	v_or3_b32 v5, v17, v63, v18
	v_add_nc_u64_e32 v[118:119], v[118:119], v[86:87]
	v_lshl_add_u64 v[16:17], v[54:55], 4, v[42:43]
	v_add_nc_u32_e32 v54, v54, v20
	v_or3_b32 v2, v2, v19, 0
	v_or3_b32 v4, v5, v4, 0
	v_mov_b32_e32 v5, v3
	v_cmp_gt_i32_e32 vcc_lo, 1, v61
	global_store_b128 v[16:17], v[2:5], off
	s_or_b32 s19, vcc_lo, s19
	s_wait_xcnt 0x0
	s_and_not1_b32 exec_lo, exec_lo, s19
	s_cbranch_execz .LBB2_545
.LBB2_129:                              ;   Parent Loop BB2_36 Depth=1
                                        ;     Parent Loop BB2_85 Depth=2
                                        ; =>    This Loop Header: Depth=3
                                        ;         Child Loop BB2_137 Depth 4
	s_delay_alu instid0(VALU_DEP_3)
	v_dual_mov_b32 v5, v119 :: v_dual_bitop2_b32 v4, -4, v118 bitop3:0x40
	v_min_u32_e32 v16, 8, v61
	v_dual_mov_b32 v63, 0 :: v_dual_bitop2_b32 v17, 3, v118 bitop3:0x40
	v_mov_b32_e32 v72, 0
	global_load_b32 v2, v[4:5], off th:TH_LOAD_NT
	s_mov_b32 s9, exec_lo
	v_add_nc_u32_e32 v16, v17, v16
	s_wait_xcnt 0x0
	s_delay_alu instid0(VALU_DEP_1)
	v_cmpx_lt_u32_e32 4, v16
	s_cbranch_execz .LBB2_131
; %bb.130:                              ;   in Loop: Header=BB2_129 Depth=3
	global_load_b32 v72, v[4:5], off offset:4 th:TH_LOAD_NT
.LBB2_131:                              ;   in Loop: Header=BB2_129 Depth=3
	s_wait_xcnt 0x0
	s_or_b32 exec_lo, exec_lo, s9
	v_mov_b32_e32 v17, v55
	s_mov_b32 s9, exec_lo
	s_delay_alu instid0(VALU_DEP_1)
	v_cmpx_lt_u64_e32 8, v[16:17]
	s_cbranch_execz .LBB2_133
; %bb.132:                              ;   in Loop: Header=BB2_129 Depth=3
	global_load_b32 v63, v[4:5], off offset:8 th:TH_LOAD_NT
.LBB2_133:                              ;   in Loop: Header=BB2_129 Depth=3
	s_wait_xcnt 0x0
	s_or_b32 exec_lo, exec_lo, s9
	v_lshl_add_u64 v[4:5], v[54:55], 4, v[40:41]
	v_cmp_eq_u32_e32 vcc_lo, 0, v21
	v_mov_b32_e32 v21, 1
	global_load_b128 v[16:19], v[4:5], off th:TH_LOAD_NT
	s_wait_xcnt 0x0
	s_and_saveexec_b32 s20, vcc_lo
	s_cbranch_execz .LBB2_145
; %bb.134:                              ;   in Loop: Header=BB2_129 Depth=3
	s_wait_loadcnt 0x0
	v_cmp_ne_u32_e32 vcc_lo, v60, v17
	v_cmp_ne_u32_e64 s9, v60, v19
	v_mov_b32_e32 v21, 0
	s_or_b32 s9, vcc_lo, s9
	s_delay_alu instid0(SALU_CYCLE_1)
	s_and_saveexec_b32 s21, s9
	s_cbranch_execz .LBB2_144
; %bb.135:                              ;   in Loop: Header=BB2_129 Depth=3
	s_mov_b32 s25, 1
	s_mov_b32 s23, 0
                                        ; implicit-def: $sgpr22
                                        ; implicit-def: $sgpr24
	s_branch .LBB2_137
.LBB2_136:                              ;   in Loop: Header=BB2_137 Depth=4
	s_or_b32 exec_lo, exec_lo, s27
	s_delay_alu instid0(SALU_CYCLE_1) | instskip(NEXT) | instid1(SALU_CYCLE_1)
	s_and_b32 s9, exec_lo, s9
	s_or_b32 s23, s9, s23
	s_and_not1_b32 s9, s22, exec_lo
	s_and_b32 s22, s24, exec_lo
	s_delay_alu instid0(SALU_CYCLE_1)
	s_or_b32 s22, s9, s22
	s_and_not1_b32 exec_lo, exec_lo, s23
	s_cbranch_execz .LBB2_141
.LBB2_137:                              ;   Parent Loop BB2_36 Depth=1
                                        ;     Parent Loop BB2_85 Depth=2
                                        ;       Parent Loop BB2_129 Depth=3
                                        ; =>      This Inner Loop Header: Depth=4
	s_wait_loadcnt 0x0
	global_load_b128 v[16:19], v[4:5], off th:TH_LOAD_NT
	s_add_co_i32 s25, s25, 1
	s_mov_b32 s9, -1
	s_cmp_lg_u32 s25, 0x2710
	s_mov_b32 s26, -1
                                        ; implicit-def: $vgpr44
	s_cbranch_scc0 .LBB2_139
; %bb.138:                              ;   in Loop: Header=BB2_137 Depth=4
	s_or_b32 s24, s24, exec_lo
	s_wait_xcnt 0x0
	s_and_saveexec_b32 s27, s26
	s_cbranch_execz .LBB2_136
	s_branch .LBB2_140
.LBB2_139:                              ;   in Loop: Header=BB2_137 Depth=4
	s_trap 2
	ds_load_b64 v[44:45], v0
	s_mov_b32 s25, 0
	s_wait_storecnt 0x0
	s_wait_loadcnt_dscnt 0x0
	flat_load_b32 v44, v[44:45] scope:SCOPE_SYS
	s_wait_loadcnt_dscnt 0x0
	global_inv scope:SCOPE_SYS
	v_cmp_eq_u32_e32 vcc_lo, 0, v44
	s_or_not1_b32 s26, vcc_lo, exec_lo
	s_or_b32 s24, s24, exec_lo
	s_wait_xcnt 0x0
	s_and_saveexec_b32 s27, s26
	s_cbranch_execz .LBB2_136
.LBB2_140:                              ;   in Loop: Header=BB2_137 Depth=4
	s_wait_loadcnt 0x0
	v_cmp_eq_u32_e32 vcc_lo, v60, v17
	v_cmp_eq_u32_e64 s9, v60, v19
	s_and_not1_b32 s24, s24, exec_lo
	s_and_b32 s9, vcc_lo, s9
	s_delay_alu instid0(SALU_CYCLE_1)
	s_or_not1_b32 s9, s9, exec_lo
	s_branch .LBB2_136
.LBB2_141:                              ;   in Loop: Header=BB2_129 Depth=3
	s_or_b32 exec_lo, exec_lo, s23
	v_mov_b32_e32 v21, 0
	s_and_saveexec_b32 s9, s22
	s_delay_alu instid0(SALU_CYCLE_1)
	s_xor_b32 s9, exec_lo, s9
	s_cbranch_execz .LBB2_143
; %bb.142:                              ;   in Loop: Header=BB2_129 Depth=3
	v_mov_b32_e32 v21, 1
	s_wait_loadcnt 0x0
	s_wait_storecnt 0x0
	ds_store_b32 v0, v44
	s_trap 2
.LBB2_143:                              ;   in Loop: Header=BB2_129 Depth=3
	s_or_b32 exec_lo, exec_lo, s9
.LBB2_144:                              ;   in Loop: Header=BB2_129 Depth=3
	s_delay_alu instid0(SALU_CYCLE_1)
	s_or_b32 exec_lo, exec_lo, s21
.LBB2_145:                              ;   in Loop: Header=BB2_129 Depth=3
	s_delay_alu instid0(SALU_CYCLE_1) | instskip(SKIP_3) | instid1(VALU_DEP_2)
	s_or_b32 exec_lo, exec_lo, s20
	s_wait_loadcnt 0x0
	v_dual_lshlrev_b32 v19, 3, v118 :: v_dual_mov_b32 v5, v55
	v_and_b32_e32 v45, 0xff, v16
                                        ; implicit-def: $vgpr44
	v_alignbit_b32 v4, v72, v2, v19
	s_delay_alu instid0(VALU_DEP_2) | instskip(SKIP_1) | instid1(SALU_CYCLE_1)
	v_cmp_ne_u16_e32 vcc_lo, 0, v45
	s_and_saveexec_b32 s9, s6
	s_xor_b32 s20, exec_lo, s9
	s_cbranch_execz .LBB2_159
; %bb.146:                              ;   in Loop: Header=BB2_129 Depth=3
	v_dual_mov_b32 v44, 0 :: v_dual_mov_b32 v2, 0
	s_and_saveexec_b32 s21, vcc_lo
	s_cbranch_execz .LBB2_152
; %bb.147:                              ;   in Loop: Header=BB2_129 Depth=3
	v_bfrev_b32_e32 v2, 1
	s_mov_b32 s22, exec_lo
	v_cmpx_ne_u16_e32 0x80, v45
	s_cbranch_execz .LBB2_151
; %bb.148:                              ;   in Loop: Header=BB2_129 Depth=3
	v_and_b32_e32 v45, 0x7f, v16
	v_mov_b32_e32 v2, 0x7f800001
	s_mov_b32 s23, exec_lo
	s_delay_alu instid0(VALU_DEP_2)
	v_cmpx_ne_u32_e32 0x7f, v45
	s_cbranch_execz .LBB2_150
; %bb.149:                              ;   in Loop: Header=BB2_129 Depth=3
	v_dual_lshrrev_b32 v46, 3, v45 :: v_dual_bitop2_b32 v2, 7, v16 bitop3:0x40
	v_cmp_gt_u32_e64 s9, 8, v45
	s_delay_alu instid0(VALU_DEP_2) | instskip(NEXT) | instid1(VALU_DEP_1)
	v_clz_i32_u32_e32 v2, v2
	v_min_u32_e32 v2, 32, v2
	s_delay_alu instid0(VALU_DEP_1) | instskip(NEXT) | instid1(VALU_DEP_1)
	v_subrev_nc_u32_e32 v45, 28, v2
	v_dual_sub_nc_u32 v2, 29, v2 :: v_dual_cndmask_b32 v45, 0, v45, s9
	s_delay_alu instid0(VALU_DEP_1) | instskip(NEXT) | instid1(VALU_DEP_2)
	v_cndmask_b32_e64 v2, v46, v2, s9
	v_lshlrev_b64_e32 v[46:47], v45, v[16:17]
	s_delay_alu instid0(VALU_DEP_1) | instskip(NEXT) | instid1(VALU_DEP_3)
	v_dual_lshlrev_b32 v45, 20, v46 :: v_dual_lshlrev_b32 v46, 24, v16
	v_lshl_add_u32 v2, v2, 23, 0x3c000000
	s_delay_alu instid0(VALU_DEP_2) | instskip(NEXT) | instid1(VALU_DEP_3)
	v_and_b32_e32 v45, 0x700000, v45
	v_and_b32_e32 v46, 0x80000000, v46
	s_delay_alu instid0(VALU_DEP_1)
	v_or3_b32 v2, v45, v46, v2
.LBB2_150:                              ;   in Loop: Header=BB2_129 Depth=3
	s_or_b32 exec_lo, exec_lo, s23
.LBB2_151:                              ;   in Loop: Header=BB2_129 Depth=3
	s_delay_alu instid0(SALU_CYCLE_1)
	s_or_b32 exec_lo, exec_lo, s22
.LBB2_152:                              ;   in Loop: Header=BB2_129 Depth=3
	s_delay_alu instid0(SALU_CYCLE_1) | instskip(SKIP_2) | instid1(VALU_DEP_1)
	s_or_b32 exec_lo, exec_lo, s21
	v_and_b32_e32 v45, 0xff, v4
	s_mov_b32 s21, exec_lo
	v_cmpx_ne_u16_e32 0, v45
	s_cbranch_execz .LBB2_158
; %bb.153:                              ;   in Loop: Header=BB2_129 Depth=3
	v_bfrev_b32_e32 v44, 1
	s_mov_b32 s22, exec_lo
	v_cmpx_ne_u16_e32 0x80, v45
	s_cbranch_execz .LBB2_157
; %bb.154:                              ;   in Loop: Header=BB2_129 Depth=3
	v_and_b32_e32 v45, 0x7f, v4
	v_mov_b32_e32 v44, 0x7f800001
	s_mov_b32 s23, exec_lo
	s_delay_alu instid0(VALU_DEP_2)
	v_cmpx_ne_u32_e32 0x7f, v45
	s_cbranch_execz .LBB2_156
; %bb.155:                              ;   in Loop: Header=BB2_129 Depth=3
	v_dual_lshrrev_b32 v46, 3, v45 :: v_dual_bitop2_b32 v44, 7, v4 bitop3:0x40
	v_cmp_gt_u32_e64 s9, 8, v45
	s_delay_alu instid0(VALU_DEP_2) | instskip(NEXT) | instid1(VALU_DEP_1)
	v_clz_i32_u32_e32 v44, v44
	v_min_u32_e32 v44, 32, v44
	s_delay_alu instid0(VALU_DEP_1) | instskip(SKIP_1) | instid1(VALU_DEP_1)
	v_subrev_nc_u32_e32 v45, 28, v44
	v_sub_nc_u32_e32 v44, 29, v44
	v_dual_cndmask_b32 v46, v46, v44, s9 :: v_dual_cndmask_b32 v44, 0, v45, s9
	s_delay_alu instid0(VALU_DEP_1) | instskip(NEXT) | instid1(VALU_DEP_2)
	v_lshl_add_u32 v46, v46, 23, 0x3c000000
	v_lshlrev_b64_e32 v[44:45], v44, v[4:5]
	v_lshlrev_b32_e32 v45, 24, v4
	s_delay_alu instid0(VALU_DEP_1) | instskip(NEXT) | instid1(VALU_DEP_3)
	v_and_b32_e32 v45, 0x80000000, v45
	v_lshlrev_b32_e32 v44, 20, v44
	s_delay_alu instid0(VALU_DEP_1) | instskip(NEXT) | instid1(VALU_DEP_1)
	v_and_b32_e32 v44, 0x700000, v44
	v_or3_b32 v44, v44, v45, v46
.LBB2_156:                              ;   in Loop: Header=BB2_129 Depth=3
	s_or_b32 exec_lo, exec_lo, s23
.LBB2_157:                              ;   in Loop: Header=BB2_129 Depth=3
	s_delay_alu instid0(SALU_CYCLE_1)
	s_or_b32 exec_lo, exec_lo, s22
.LBB2_158:                              ;   in Loop: Header=BB2_129 Depth=3
	s_delay_alu instid0(SALU_CYCLE_1) | instskip(NEXT) | instid1(VALU_DEP_1)
	s_or_b32 exec_lo, exec_lo, s21
	v_dual_max_num_f32 v44, v44, v44 :: v_dual_max_num_f32 v2, v2, v2
                                        ; implicit-def: $vgpr45
	s_delay_alu instid0(VALU_DEP_1)
	v_max_num_f32_e32 v44, v2, v44
.LBB2_159:                              ;   in Loop: Header=BB2_129 Depth=3
	s_and_not1_saveexec_b32 s9, s20
	s_cbranch_execz .LBB2_173
; %bb.160:                              ;   in Loop: Header=BB2_129 Depth=3
	v_dual_mov_b32 v2, 0 :: v_dual_mov_b32 v44, 0
	s_and_saveexec_b32 s20, vcc_lo
	s_cbranch_execz .LBB2_166
; %bb.161:                              ;   in Loop: Header=BB2_129 Depth=3
	v_bfrev_b32_e32 v44, 1
	s_mov_b32 s21, exec_lo
	v_cmpx_ne_u16_e32 0x80, v45
	s_cbranch_execz .LBB2_165
; %bb.162:                              ;   in Loop: Header=BB2_129 Depth=3
	v_and_b32_e32 v45, 0x7f, v16
	v_mov_b32_e32 v44, 0x7f800001
	s_mov_b32 s22, exec_lo
	s_delay_alu instid0(VALU_DEP_2)
	v_cmpx_ne_u32_e32 0x7f, v45
	s_cbranch_execz .LBB2_164
; %bb.163:                              ;   in Loop: Header=BB2_129 Depth=3
	v_dual_lshrrev_b32 v46, 3, v45 :: v_dual_bitop2_b32 v44, 7, v16 bitop3:0x40
	v_cmp_gt_u32_e32 vcc_lo, 8, v45
	s_delay_alu instid0(VALU_DEP_2) | instskip(NEXT) | instid1(VALU_DEP_1)
	v_clz_i32_u32_e32 v44, v44
	v_min_u32_e32 v44, 32, v44
	s_delay_alu instid0(VALU_DEP_1) | instskip(SKIP_1) | instid1(VALU_DEP_1)
	v_subrev_nc_u32_e32 v45, 28, v44
	v_sub_nc_u32_e32 v44, 29, v44
	v_dual_cndmask_b32 v46, v46, v44, vcc_lo :: v_dual_cndmask_b32 v44, 0, v45, vcc_lo
	s_delay_alu instid0(VALU_DEP_1) | instskip(NEXT) | instid1(VALU_DEP_2)
	v_lshlrev_b64_e32 v[44:45], v44, v[16:17]
	v_lshl_add_u32 v45, v46, 23, 0x3c000000
	s_delay_alu instid0(VALU_DEP_2) | instskip(SKIP_1) | instid1(VALU_DEP_2)
	v_lshlrev_b32_e32 v17, 20, v44
	v_lshlrev_b32_e32 v44, 24, v16
	v_and_b32_e32 v17, 0x700000, v17
	s_delay_alu instid0(VALU_DEP_2) | instskip(NEXT) | instid1(VALU_DEP_1)
	v_and_b32_e32 v44, 0x80000000, v44
	v_or3_b32 v44, v17, v44, v45
.LBB2_164:                              ;   in Loop: Header=BB2_129 Depth=3
	s_or_b32 exec_lo, exec_lo, s22
.LBB2_165:                              ;   in Loop: Header=BB2_129 Depth=3
	s_delay_alu instid0(SALU_CYCLE_1)
	s_or_b32 exec_lo, exec_lo, s21
.LBB2_166:                              ;   in Loop: Header=BB2_129 Depth=3
	s_delay_alu instid0(SALU_CYCLE_1) | instskip(SKIP_2) | instid1(VALU_DEP_1)
	s_or_b32 exec_lo, exec_lo, s20
	v_and_b32_e32 v17, 0xff, v4
	s_mov_b32 s20, exec_lo
	v_cmpx_ne_u16_e32 0, v17
	s_cbranch_execz .LBB2_172
; %bb.167:                              ;   in Loop: Header=BB2_129 Depth=3
	v_bfrev_b32_e32 v2, 1
	s_mov_b32 s21, exec_lo
	v_cmpx_ne_u16_e32 0x80, v17
	s_cbranch_execz .LBB2_171
; %bb.168:                              ;   in Loop: Header=BB2_129 Depth=3
	v_and_b32_e32 v17, 0x7f, v4
	v_mov_b32_e32 v2, 0x7f800001
	s_mov_b32 s22, exec_lo
	s_delay_alu instid0(VALU_DEP_2)
	v_cmpx_ne_u32_e32 0x7f, v17
	s_cbranch_execz .LBB2_170
; %bb.169:                              ;   in Loop: Header=BB2_129 Depth=3
	v_dual_lshrrev_b32 v45, 3, v17 :: v_dual_bitop2_b32 v2, 7, v4 bitop3:0x40
	v_cmp_gt_u32_e32 vcc_lo, 8, v17
	s_delay_alu instid0(VALU_DEP_2) | instskip(NEXT) | instid1(VALU_DEP_1)
	v_clz_i32_u32_e32 v2, v2
	v_min_u32_e32 v2, 32, v2
	s_delay_alu instid0(VALU_DEP_1) | instskip(SKIP_1) | instid1(VALU_DEP_2)
	v_subrev_nc_u32_e32 v46, 28, v2
	v_sub_nc_u32_e32 v2, 29, v2
	v_cndmask_b32_e32 v17, 0, v46, vcc_lo
	s_delay_alu instid0(VALU_DEP_1) | instskip(NEXT) | instid1(VALU_DEP_3)
	v_lshlrev_b64_e32 v[46:47], v17, v[4:5]
	v_dual_cndmask_b32 v2, v45, v2 :: v_dual_lshlrev_b32 v5, 24, v4
	s_delay_alu instid0(VALU_DEP_1) | instskip(NEXT) | instid1(VALU_DEP_3)
	v_and_b32_e32 v5, 0x80000000, v5
	v_lshlrev_b32_e32 v17, 20, v46
	s_delay_alu instid0(VALU_DEP_3) | instskip(NEXT) | instid1(VALU_DEP_2)
	v_lshl_add_u32 v2, v2, 23, 0x3c000000
	v_and_b32_e32 v17, 0x700000, v17
	s_delay_alu instid0(VALU_DEP_1)
	v_or3_b32 v2, v17, v5, v2
.LBB2_170:                              ;   in Loop: Header=BB2_129 Depth=3
	s_or_b32 exec_lo, exec_lo, s22
.LBB2_171:                              ;   in Loop: Header=BB2_129 Depth=3
	s_delay_alu instid0(SALU_CYCLE_1)
	s_or_b32 exec_lo, exec_lo, s21
.LBB2_172:                              ;   in Loop: Header=BB2_129 Depth=3
	s_delay_alu instid0(SALU_CYCLE_1) | instskip(NEXT) | instid1(VALU_DEP_1)
	s_or_b32 exec_lo, exec_lo, s20
	v_dual_max_num_f32 v2, v2, v2 :: v_dual_max_num_f32 v5, v44, v44
	s_delay_alu instid0(VALU_DEP_1)
	v_min_num_f32_e32 v44, v5, v2
.LBB2_173:                              ;   in Loop: Header=BB2_129 Depth=3
	s_or_b32 exec_lo, exec_lo, s9
	s_delay_alu instid0(VALU_DEP_1) | instskip(SKIP_2) | instid1(VALU_DEP_1)
	v_and_b32_e32 v46, 0x7f800000, v44
	v_dual_mov_b32 v47, v55 :: v_dual_lshrrev_b32 v5, 24, v44
                                        ; implicit-def: $vgpr2
	s_mov_b32 s9, exec_lo
	v_cmpx_ne_u64_e32 0x7f800000, v[46:47]
	s_xor_b32 s20, exec_lo, s9
	s_cbranch_execz .LBB2_187
; %bb.174:                              ;   in Loop: Header=BB2_129 Depth=3
	v_and_b32_e32 v46, 0x7fffffff, v44
	v_mov_b32_e32 v47, v55
	v_and_b32_e32 v5, 0x80, v5
                                        ; implicit-def: $vgpr2
	s_mov_b32 s9, exec_lo
	s_delay_alu instid0(VALU_DEP_2)
	v_cmpx_gt_u64_e32 0x43e00001, v[46:47]
	s_xor_b32 s21, exec_lo, s9
	s_cbranch_execz .LBB2_184
; %bb.175:                              ;   in Loop: Header=BB2_129 Depth=3
	v_mov_b32_e32 v2, 0
	s_mov_b32 s22, exec_lo
	v_cmpx_ne_u32_e32 0, v44
	s_cbranch_execz .LBB2_183
; %bb.176:                              ;   in Loop: Header=BB2_129 Depth=3
	v_bfe_u32 v2, v44, 23, 8
	v_and_b32_e32 v46, 0x7fffff, v44
	s_mov_b32 s23, exec_lo
	s_delay_alu instid0(VALU_DEP_2) | instskip(SKIP_3) | instid1(VALU_DEP_1)
	v_sub_nc_u32_e32 v17, 0x79, v2
	v_cmp_gt_u32_e64 s9, 0x7a, v2
	v_cmp_eq_u32_e32 vcc_lo, 0, v2
	v_or_b32_e32 v47, 0x800000, v46
	v_dual_cndmask_b32 v17, 0, v17, s9 :: v_dual_cndmask_b32 v46, v47, v46, vcc_lo
	v_mov_b32_e32 v47, v55
	s_delay_alu instid0(VALU_DEP_2) | instskip(NEXT) | instid1(VALU_DEP_1)
	v_cndmask_b32_e64 v17, v17, 0x78, vcc_lo
	v_dual_add_nc_u32 v44, 20, v17 :: v_dual_add_nc_u32 v62, 19, v17
	s_delay_alu instid0(VALU_DEP_1) | instskip(NEXT) | instid1(VALU_DEP_2)
	v_lshlrev_b64_e64 v[44:45], v44, -1
	v_lshlrev_b64_e64 v[74:75], v62, 1
	s_delay_alu instid0(VALU_DEP_2) | instskip(NEXT) | instid1(VALU_DEP_3)
	v_bfi_b32 v77, v45, 0, 0
	v_bfi_b32 v76, v44, 0, v46
	v_lshrrev_b64 v[44:45], v17, v[46:47]
	s_delay_alu instid0(VALU_DEP_1) | instskip(NEXT) | instid1(VALU_DEP_3)
	v_mov_b64_e32 v[46:47], v[44:45]
	v_cmpx_eq_u64_e64 v[76:77], v[74:75]
; %bb.177:                              ;   in Loop: Header=BB2_129 Depth=3
	v_bfe_u32 v46, v44, 20, 1
	v_mov_b32_e32 v47, v55
	s_delay_alu instid0(VALU_DEP_1) | instskip(NEXT) | instid1(VALU_DEP_1)
	v_add_nc_u64_e32 v[46:47], v[44:45], v[46:47]
	v_add_nc_u64_e32 v[46:47], -1, v[46:47]
; %bb.178:                              ;   in Loop: Header=BB2_129 Depth=3
	s_or_b32 exec_lo, exec_lo, s23
	v_add_nc_u32_e32 v2, 0xffffff81, v2
	v_lshrrev_b32_e32 v45, 23, v44
	s_mov_b32 s9, exec_lo
	s_delay_alu instid0(VALU_DEP_2) | instskip(NEXT) | instid1(VALU_DEP_1)
	v_cndmask_b32_e64 v2, v2, 0xffffff82, vcc_lo
	v_add3_u32 v17, v17, v2, v45
	v_and_b32_e32 v2, 0xfffff, v46
	s_delay_alu instid0(VALU_DEP_2) | instskip(NEXT) | instid1(VALU_DEP_2)
	v_dual_mov_b32 v45, v55 :: v_dual_add_nc_u32 v46, 6, v17
	v_add_nc_u32_e32 v44, v2, v44
                                        ; implicit-def: $vgpr2
	s_delay_alu instid0(VALU_DEP_2)
	v_cmpx_ne_u32_e32 0, v46
	s_xor_b32 s9, exec_lo, s9
; %bb.179:                              ;   in Loop: Header=BB2_129 Depth=3
	s_delay_alu instid0(VALU_DEP_2) | instskip(SKIP_2) | instid1(VALU_DEP_2)
	v_cmp_lt_u64_e32 vcc_lo, 0xffffff, v[44:45]
	v_add_nc_u32_e32 v2, 7, v17
	v_cndmask_b32_e64 v17, 0, 1, vcc_lo
	v_cndmask_b32_e32 v2, v46, v2, vcc_lo
	s_delay_alu instid0(VALU_DEP_2)
	v_lshrrev_b64 v[44:45], v17, v[44:45]
; %bb.180:                              ;   in Loop: Header=BB2_129 Depth=3
	s_and_not1_saveexec_b32 s9, s9
; %bb.181:                              ;   in Loop: Header=BB2_129 Depth=3
	s_delay_alu instid0(VALU_DEP_1)
	v_bfe_u32 v2, v44, 23, 1
; %bb.182:                              ;   in Loop: Header=BB2_129 Depth=3
	s_or_b32 exec_lo, exec_lo, s9
	s_delay_alu instid0(VALU_DEP_2) | instskip(NEXT) | instid1(VALU_DEP_2)
	v_lshrrev_b64 v[44:45], 20, v[44:45]
	v_cmp_gt_i32_e32 vcc_lo, 16, v2
	v_min_i32_e32 v17, 15, v2
	v_cmp_eq_u32_e64 s9, 0, v2
	s_delay_alu instid0(VALU_DEP_4) | instskip(NEXT) | instid1(VALU_DEP_3)
	v_cndmask_b32_e32 v45, 0, v45, vcc_lo
	v_dual_cndmask_b32 v44, 7, v44 :: v_dual_lshlrev_b32 v17, 3, v17
	s_delay_alu instid0(VALU_DEP_1) | instskip(NEXT) | instid1(VALU_DEP_2)
	v_and_b32_e32 v17, 0xf8, v17
	v_cmp_eq_u64_e32 vcc_lo, 0, v[44:45]
	s_delay_alu instid0(VALU_DEP_2)
	v_and_or_b32 v2, v44, 7, v17
	s_and_b32 s9, s9, vcc_lo
	s_delay_alu instid0(VALU_DEP_1) | instid1(SALU_CYCLE_1)
	v_cndmask_b32_e64 v2, v2, 0, s9
	s_delay_alu instid0(VALU_DEP_1)
	v_or_b32_e32 v2, v2, v5
.LBB2_183:                              ;   in Loop: Header=BB2_129 Depth=3
	s_or_b32 exec_lo, exec_lo, s22
                                        ; implicit-def: $vgpr5
.LBB2_184:                              ;   in Loop: Header=BB2_129 Depth=3
	s_and_not1_saveexec_b32 s9, s21
; %bb.185:                              ;   in Loop: Header=BB2_129 Depth=3
	v_or_b32_e32 v2, 0x7e, v5
; %bb.186:                              ;   in Loop: Header=BB2_129 Depth=3
	s_or_b32 exec_lo, exec_lo, s9
                                        ; implicit-def: $vgpr5
.LBB2_187:                              ;   in Loop: Header=BB2_129 Depth=3
	s_and_not1_saveexec_b32 s9, s20
; %bb.188:                              ;   in Loop: Header=BB2_129 Depth=3
	v_or_b32_e32 v2, 0x7f, v5
; %bb.189:                              ;   in Loop: Header=BB2_129 Depth=3
	s_or_b32 exec_lo, exec_lo, s9
	v_lshrrev_b16 v44, 8, v16
	v_lshrrev_b16 v5, 8, v4
                                        ; implicit-def: $vgpr17
	s_delay_alu instid0(VALU_DEP_2) | instskip(SKIP_1) | instid1(SALU_CYCLE_1)
	v_cmp_ne_u16_e32 vcc_lo, 0, v44
	s_and_saveexec_b32 s9, s6
	s_xor_b32 s20, exec_lo, s9
	s_cbranch_execz .LBB2_207
; %bb.190:                              ;   in Loop: Header=BB2_129 Depth=3
	v_dual_mov_b32 v46, 0 :: v_dual_mov_b32 v17, 0
	s_and_saveexec_b32 s21, vcc_lo
	s_cbranch_execz .LBB2_198
; %bb.191:                              ;   in Loop: Header=BB2_129 Depth=3
	v_bfrev_b32_e32 v17, 1
	s_mov_b32 s22, exec_lo
	v_cmpx_ne_u16_e32 0x80, v44
	s_cbranch_execz .LBB2_197
; %bb.192:                              ;   in Loop: Header=BB2_129 Depth=3
	v_and_b32_e32 v44, 0xffff, v44
	v_mov_b32_e32 v17, 0x7f800001
	s_mov_b32 s23, exec_lo
	s_delay_alu instid0(VALU_DEP_2) | instskip(NEXT) | instid1(VALU_DEP_1)
	v_and_b32_e32 v47, 0x7f, v44
	v_cmpx_ne_u32_e32 0x7f, v47
	s_cbranch_execz .LBB2_196
; %bb.193:                              ;   in Loop: Header=BB2_129 Depth=3
	v_dual_mov_b32 v45, v55 :: v_dual_bitop2_b32 v44, 7, v44 bitop3:0x40
	v_lshrrev_b32_e32 v17, 3, v47
	s_mov_b32 s24, exec_lo
	v_cmpx_gt_u32_e32 8, v47
; %bb.194:                              ;   in Loop: Header=BB2_129 Depth=3
	s_delay_alu instid0(VALU_DEP_3) | instskip(NEXT) | instid1(VALU_DEP_1)
	v_clz_i32_u32_e32 v17, v44
	v_min_u32_e32 v17, 32, v17
	s_delay_alu instid0(VALU_DEP_1) | instskip(NEXT) | instid1(VALU_DEP_1)
	v_subrev_nc_u32_e32 v47, 28, v17
	v_lshlrev_b64_e32 v[44:45], v47, v[44:45]
	s_delay_alu instid0(VALU_DEP_1)
	v_dual_sub_nc_u32 v17, 29, v17 :: v_dual_bitop2_b32 v44, 7, v44 bitop3:0x40
; %bb.195:                              ;   in Loop: Header=BB2_129 Depth=3
	s_or_b32 exec_lo, exec_lo, s24
	v_lshlrev_b32_e32 v45, 16, v16
	s_delay_alu instid0(VALU_DEP_2) | instskip(NEXT) | instid1(VALU_DEP_3)
	v_lshlrev_b32_e32 v44, 20, v44
	v_lshl_add_u32 v17, v17, 23, 0x3c000000
	s_delay_alu instid0(VALU_DEP_3) | instskip(NEXT) | instid1(VALU_DEP_1)
	v_and_b32_e32 v45, 0x80000000, v45
	v_or3_b32 v17, v44, v45, v17
.LBB2_196:                              ;   in Loop: Header=BB2_129 Depth=3
	s_or_b32 exec_lo, exec_lo, s23
.LBB2_197:                              ;   in Loop: Header=BB2_129 Depth=3
	s_delay_alu instid0(SALU_CYCLE_1)
	s_or_b32 exec_lo, exec_lo, s22
.LBB2_198:                              ;   in Loop: Header=BB2_129 Depth=3
	s_delay_alu instid0(SALU_CYCLE_1) | instskip(NEXT) | instid1(SALU_CYCLE_1)
	s_or_b32 exec_lo, exec_lo, s21
	s_mov_b32 s21, exec_lo
	v_cmpx_ne_u16_e32 0, v5
	s_cbranch_execz .LBB2_206
; %bb.199:                              ;   in Loop: Header=BB2_129 Depth=3
	v_bfrev_b32_e32 v46, 1
	s_mov_b32 s22, exec_lo
	v_cmpx_ne_u16_e32 0x80, v5
	s_cbranch_execz .LBB2_205
; %bb.200:                              ;   in Loop: Header=BB2_129 Depth=3
	v_and_b32_e32 v5, 0xffff, v5
	v_mov_b32_e32 v46, 0x7f800001
	s_mov_b32 s23, exec_lo
	s_delay_alu instid0(VALU_DEP_2) | instskip(NEXT) | instid1(VALU_DEP_1)
	v_and_b32_e32 v47, 0x7f, v5
	v_cmpx_ne_u32_e32 0x7f, v47
	s_cbranch_execz .LBB2_204
; %bb.201:                              ;   in Loop: Header=BB2_129 Depth=3
	v_dual_mov_b32 v45, v55 :: v_dual_bitop2_b32 v44, 7, v5 bitop3:0x40
	v_lshrrev_b32_e32 v5, 3, v47
	s_mov_b32 s24, exec_lo
	v_cmpx_gt_u32_e32 8, v47
; %bb.202:                              ;   in Loop: Header=BB2_129 Depth=3
	s_delay_alu instid0(VALU_DEP_3) | instskip(NEXT) | instid1(VALU_DEP_1)
	v_clz_i32_u32_e32 v5, v44
	v_min_u32_e32 v5, 32, v5
	s_delay_alu instid0(VALU_DEP_1) | instskip(NEXT) | instid1(VALU_DEP_1)
	v_subrev_nc_u32_e32 v46, 28, v5
	v_lshlrev_b64_e32 v[44:45], v46, v[44:45]
	s_delay_alu instid0(VALU_DEP_1)
	v_dual_sub_nc_u32 v5, 29, v5 :: v_dual_bitop2_b32 v44, 7, v44 bitop3:0x40
; %bb.203:                              ;   in Loop: Header=BB2_129 Depth=3
	s_or_b32 exec_lo, exec_lo, s24
	v_lshlrev_b32_e32 v45, 16, v4
	s_delay_alu instid0(VALU_DEP_2) | instskip(NEXT) | instid1(VALU_DEP_3)
	v_lshlrev_b32_e32 v44, 20, v44
	v_lshl_add_u32 v5, v5, 23, 0x3c000000
	s_delay_alu instid0(VALU_DEP_3) | instskip(NEXT) | instid1(VALU_DEP_1)
	v_and_b32_e32 v45, 0x80000000, v45
	v_or3_b32 v46, v44, v45, v5
.LBB2_204:                              ;   in Loop: Header=BB2_129 Depth=3
	s_or_b32 exec_lo, exec_lo, s23
.LBB2_205:                              ;   in Loop: Header=BB2_129 Depth=3
	s_delay_alu instid0(SALU_CYCLE_1)
	s_or_b32 exec_lo, exec_lo, s22
.LBB2_206:                              ;   in Loop: Header=BB2_129 Depth=3
	s_delay_alu instid0(SALU_CYCLE_1) | instskip(NEXT) | instid1(VALU_DEP_1)
	s_or_b32 exec_lo, exec_lo, s21
	v_dual_max_num_f32 v5, v46, v46 :: v_dual_max_num_f32 v17, v17, v17
                                        ; implicit-def: $vgpr44
	s_delay_alu instid0(VALU_DEP_1)
	v_max_num_f32_e32 v17, v17, v5
                                        ; implicit-def: $vgpr5
.LBB2_207:                              ;   in Loop: Header=BB2_129 Depth=3
	s_and_not1_saveexec_b32 s9, s20
	s_cbranch_execz .LBB2_225
; %bb.208:                              ;   in Loop: Header=BB2_129 Depth=3
	v_dual_mov_b32 v46, 0 :: v_dual_mov_b32 v17, 0
	s_and_saveexec_b32 s20, vcc_lo
	s_cbranch_execz .LBB2_216
; %bb.209:                              ;   in Loop: Header=BB2_129 Depth=3
	v_bfrev_b32_e32 v17, 1
	s_mov_b32 s21, exec_lo
	v_cmpx_ne_u16_e32 0x80, v44
	s_cbranch_execz .LBB2_215
; %bb.210:                              ;   in Loop: Header=BB2_129 Depth=3
	v_and_b32_e32 v44, 0xffff, v44
	v_mov_b32_e32 v17, 0x7f800001
	s_mov_b32 s22, exec_lo
	s_delay_alu instid0(VALU_DEP_2) | instskip(NEXT) | instid1(VALU_DEP_1)
	v_and_b32_e32 v47, 0x7f, v44
	v_cmpx_ne_u32_e32 0x7f, v47
	s_cbranch_execz .LBB2_214
; %bb.211:                              ;   in Loop: Header=BB2_129 Depth=3
	v_dual_mov_b32 v45, v55 :: v_dual_bitop2_b32 v44, 7, v44 bitop3:0x40
	v_lshrrev_b32_e32 v17, 3, v47
	s_mov_b32 s23, exec_lo
	v_cmpx_gt_u32_e32 8, v47
; %bb.212:                              ;   in Loop: Header=BB2_129 Depth=3
	s_delay_alu instid0(VALU_DEP_3) | instskip(NEXT) | instid1(VALU_DEP_1)
	v_clz_i32_u32_e32 v17, v44
	v_min_u32_e32 v17, 32, v17
	s_delay_alu instid0(VALU_DEP_1) | instskip(NEXT) | instid1(VALU_DEP_1)
	v_subrev_nc_u32_e32 v47, 28, v17
	v_lshlrev_b64_e32 v[44:45], v47, v[44:45]
	s_delay_alu instid0(VALU_DEP_1)
	v_dual_sub_nc_u32 v17, 29, v17 :: v_dual_bitop2_b32 v44, 7, v44 bitop3:0x40
; %bb.213:                              ;   in Loop: Header=BB2_129 Depth=3
	s_or_b32 exec_lo, exec_lo, s23
	v_lshlrev_b32_e32 v45, 16, v16
	s_delay_alu instid0(VALU_DEP_2) | instskip(NEXT) | instid1(VALU_DEP_3)
	v_lshlrev_b32_e32 v44, 20, v44
	v_lshl_add_u32 v17, v17, 23, 0x3c000000
	s_delay_alu instid0(VALU_DEP_3) | instskip(NEXT) | instid1(VALU_DEP_1)
	v_and_b32_e32 v45, 0x80000000, v45
	v_or3_b32 v17, v44, v45, v17
.LBB2_214:                              ;   in Loop: Header=BB2_129 Depth=3
	s_or_b32 exec_lo, exec_lo, s22
.LBB2_215:                              ;   in Loop: Header=BB2_129 Depth=3
	s_delay_alu instid0(SALU_CYCLE_1)
	s_or_b32 exec_lo, exec_lo, s21
.LBB2_216:                              ;   in Loop: Header=BB2_129 Depth=3
	s_delay_alu instid0(SALU_CYCLE_1) | instskip(NEXT) | instid1(SALU_CYCLE_1)
	s_or_b32 exec_lo, exec_lo, s20
	s_mov_b32 s20, exec_lo
	v_cmpx_ne_u16_e32 0, v5
	s_cbranch_execz .LBB2_224
; %bb.217:                              ;   in Loop: Header=BB2_129 Depth=3
	v_bfrev_b32_e32 v46, 1
	s_mov_b32 s21, exec_lo
	v_cmpx_ne_u16_e32 0x80, v5
	s_cbranch_execz .LBB2_223
; %bb.218:                              ;   in Loop: Header=BB2_129 Depth=3
	v_and_b32_e32 v5, 0xffff, v5
	v_mov_b32_e32 v46, 0x7f800001
	s_mov_b32 s22, exec_lo
	s_delay_alu instid0(VALU_DEP_2) | instskip(NEXT) | instid1(VALU_DEP_1)
	v_and_b32_e32 v47, 0x7f, v5
	v_cmpx_ne_u32_e32 0x7f, v47
	s_cbranch_execz .LBB2_222
; %bb.219:                              ;   in Loop: Header=BB2_129 Depth=3
	v_dual_mov_b32 v45, v55 :: v_dual_bitop2_b32 v44, 7, v5 bitop3:0x40
	v_lshrrev_b32_e32 v5, 3, v47
	s_mov_b32 s23, exec_lo
	v_cmpx_gt_u32_e32 8, v47
; %bb.220:                              ;   in Loop: Header=BB2_129 Depth=3
	s_delay_alu instid0(VALU_DEP_3) | instskip(NEXT) | instid1(VALU_DEP_1)
	v_clz_i32_u32_e32 v5, v44
	v_min_u32_e32 v5, 32, v5
	s_delay_alu instid0(VALU_DEP_1) | instskip(NEXT) | instid1(VALU_DEP_1)
	v_subrev_nc_u32_e32 v46, 28, v5
	v_lshlrev_b64_e32 v[44:45], v46, v[44:45]
	s_delay_alu instid0(VALU_DEP_1)
	v_dual_sub_nc_u32 v5, 29, v5 :: v_dual_bitop2_b32 v44, 7, v44 bitop3:0x40
; %bb.221:                              ;   in Loop: Header=BB2_129 Depth=3
	s_or_b32 exec_lo, exec_lo, s23
	v_lshlrev_b32_e32 v45, 16, v4
	s_delay_alu instid0(VALU_DEP_2) | instskip(NEXT) | instid1(VALU_DEP_3)
	v_lshlrev_b32_e32 v44, 20, v44
	v_lshl_add_u32 v5, v5, 23, 0x3c000000
	s_delay_alu instid0(VALU_DEP_3) | instskip(NEXT) | instid1(VALU_DEP_1)
	v_and_b32_e32 v45, 0x80000000, v45
	v_or3_b32 v46, v44, v45, v5
.LBB2_222:                              ;   in Loop: Header=BB2_129 Depth=3
	s_or_b32 exec_lo, exec_lo, s22
.LBB2_223:                              ;   in Loop: Header=BB2_129 Depth=3
	s_delay_alu instid0(SALU_CYCLE_1)
	s_or_b32 exec_lo, exec_lo, s21
.LBB2_224:                              ;   in Loop: Header=BB2_129 Depth=3
	s_delay_alu instid0(SALU_CYCLE_1) | instskip(NEXT) | instid1(VALU_DEP_1)
	s_or_b32 exec_lo, exec_lo, s20
	v_dual_max_num_f32 v5, v46, v46 :: v_dual_max_num_f32 v17, v17, v17
	s_delay_alu instid0(VALU_DEP_1)
	v_min_num_f32_e32 v17, v17, v5
.LBB2_225:                              ;   in Loop: Header=BB2_129 Depth=3
	s_or_b32 exec_lo, exec_lo, s9
	s_delay_alu instid0(VALU_DEP_1) | instskip(SKIP_2) | instid1(VALU_DEP_1)
	v_and_b32_e32 v44, 0x7f800000, v17
	v_dual_mov_b32 v45, v55 :: v_dual_lshrrev_b32 v5, 24, v17
                                        ; implicit-def: $vgpr62
	s_mov_b32 s9, exec_lo
	v_cmpx_ne_u64_e32 0x7f800000, v[44:45]
	s_xor_b32 s20, exec_lo, s9
	s_cbranch_execz .LBB2_239
; %bb.226:                              ;   in Loop: Header=BB2_129 Depth=3
	v_and_b32_e32 v44, 0x7fffffff, v17
	v_mov_b32_e32 v45, v55
	v_and_b32_e32 v5, 0x80, v5
                                        ; implicit-def: $vgpr62
	s_mov_b32 s9, exec_lo
	s_delay_alu instid0(VALU_DEP_2)
	v_cmpx_gt_u64_e32 0x43e00001, v[44:45]
	s_xor_b32 s21, exec_lo, s9
	s_cbranch_execz .LBB2_236
; %bb.227:                              ;   in Loop: Header=BB2_129 Depth=3
	v_mov_b32_e32 v62, 0
	s_mov_b32 s22, exec_lo
	v_cmpx_ne_u32_e32 0, v17
	s_cbranch_execz .LBB2_235
; %bb.228:                              ;   in Loop: Header=BB2_129 Depth=3
	v_bfe_u32 v62, v17, 23, 8
	v_and_b32_e32 v17, 0x7fffff, v17
	s_mov_b32 s23, exec_lo
	s_delay_alu instid0(VALU_DEP_2) | instskip(SKIP_1) | instid1(VALU_DEP_3)
	v_dual_mov_b32 v47, v55 :: v_dual_sub_nc_u32 v44, 0x79, v62
	v_cmp_gt_u32_e32 vcc_lo, 0x7a, v62
	v_or_b32_e32 v46, 0x800000, v17
	s_delay_alu instid0(VALU_DEP_3) | instskip(SKIP_1) | instid1(VALU_DEP_2)
	v_cndmask_b32_e32 v44, 0, v44, vcc_lo
	v_cmp_eq_u32_e32 vcc_lo, 0, v62
	v_cndmask_b32_e64 v73, v44, 0x78, vcc_lo
	s_delay_alu instid0(VALU_DEP_4) | instskip(NEXT) | instid1(VALU_DEP_2)
	v_cndmask_b32_e32 v46, v46, v17, vcc_lo
	v_dual_add_nc_u32 v44, 20, v73 :: v_dual_add_nc_u32 v74, 19, v73
	s_delay_alu instid0(VALU_DEP_1) | instskip(NEXT) | instid1(VALU_DEP_2)
	v_lshlrev_b64_e64 v[44:45], v44, -1
	v_lshlrev_b64_e64 v[74:75], v74, 1
	s_delay_alu instid0(VALU_DEP_2) | instskip(NEXT) | instid1(VALU_DEP_3)
	v_bfi_b32 v77, v45, 0, 0
	v_bfi_b32 v76, v44, 0, v46
	v_lshrrev_b64 v[44:45], v73, v[46:47]
	s_delay_alu instid0(VALU_DEP_1) | instskip(NEXT) | instid1(VALU_DEP_3)
	v_mov_b64_e32 v[46:47], v[44:45]
	v_cmpx_eq_u64_e64 v[76:77], v[74:75]
; %bb.229:                              ;   in Loop: Header=BB2_129 Depth=3
	v_bfe_u32 v46, v44, 20, 1
	v_mov_b32_e32 v47, v55
	s_delay_alu instid0(VALU_DEP_1) | instskip(NEXT) | instid1(VALU_DEP_1)
	v_add_nc_u64_e32 v[46:47], v[44:45], v[46:47]
	v_add_nc_u64_e32 v[46:47], -1, v[46:47]
; %bb.230:                              ;   in Loop: Header=BB2_129 Depth=3
	s_or_b32 exec_lo, exec_lo, s23
	v_add_nc_u32_e32 v17, 0xffffff81, v62
	v_lshrrev_b32_e32 v45, 23, v44
	s_mov_b32 s9, exec_lo
	s_delay_alu instid0(VALU_DEP_2) | instskip(NEXT) | instid1(VALU_DEP_1)
	v_cndmask_b32_e64 v17, v17, 0xffffff82, vcc_lo
	v_add3_u32 v47, v73, v17, v45
	v_and_b32_e32 v17, 0xfffff, v46
	s_delay_alu instid0(VALU_DEP_2) | instskip(NEXT) | instid1(VALU_DEP_2)
	v_dual_mov_b32 v45, v55 :: v_dual_add_nc_u32 v46, 6, v47
	v_add_nc_u32_e32 v44, v17, v44
                                        ; implicit-def: $vgpr17
	s_delay_alu instid0(VALU_DEP_2)
	v_cmpx_ne_u32_e32 0, v46
	s_xor_b32 s9, exec_lo, s9
; %bb.231:                              ;   in Loop: Header=BB2_129 Depth=3
	s_delay_alu instid0(VALU_DEP_2) | instskip(SKIP_1) | instid1(VALU_DEP_1)
	v_cmp_lt_u64_e32 vcc_lo, 0xffffff, v[44:45]
	v_add_nc_u32_e32 v17, 7, v47
	v_cndmask_b32_e32 v17, v46, v17, vcc_lo
	v_cndmask_b32_e64 v46, 0, 1, vcc_lo
	s_delay_alu instid0(VALU_DEP_1)
	v_lshrrev_b64 v[44:45], v46, v[44:45]
; %bb.232:                              ;   in Loop: Header=BB2_129 Depth=3
	s_and_not1_saveexec_b32 s9, s9
; %bb.233:                              ;   in Loop: Header=BB2_129 Depth=3
	s_delay_alu instid0(VALU_DEP_1)
	v_bfe_u32 v17, v44, 23, 1
; %bb.234:                              ;   in Loop: Header=BB2_129 Depth=3
	s_or_b32 exec_lo, exec_lo, s9
	s_delay_alu instid0(VALU_DEP_2) | instskip(NEXT) | instid1(VALU_DEP_2)
	v_lshrrev_b64 v[44:45], 20, v[44:45]
	v_cmp_gt_i32_e32 vcc_lo, 16, v17
	v_min_i32_e32 v46, 15, v17
	v_cmp_eq_u32_e64 s9, 0, v17
	s_delay_alu instid0(VALU_DEP_2) | instskip(SKIP_1) | instid1(VALU_DEP_2)
	v_dual_cndmask_b32 v44, 7, v44, vcc_lo :: v_dual_lshlrev_b32 v46, 3, v46
	v_cndmask_b32_e32 v45, 0, v45, vcc_lo
	v_and_b32_e32 v46, 0xf8, v46
	s_delay_alu instid0(VALU_DEP_2) | instskip(NEXT) | instid1(VALU_DEP_2)
	v_cmp_eq_u64_e32 vcc_lo, 0, v[44:45]
	v_and_or_b32 v17, v44, 7, v46
	s_and_b32 s9, s9, vcc_lo
	s_delay_alu instid0(VALU_DEP_1) | instid1(SALU_CYCLE_1)
	v_cndmask_b32_e64 v17, v17, 0, s9
	s_delay_alu instid0(VALU_DEP_1)
	v_or_b32_e32 v62, v17, v5
.LBB2_235:                              ;   in Loop: Header=BB2_129 Depth=3
	s_or_b32 exec_lo, exec_lo, s22
                                        ; implicit-def: $vgpr5
.LBB2_236:                              ;   in Loop: Header=BB2_129 Depth=3
	s_and_not1_saveexec_b32 s9, s21
; %bb.237:                              ;   in Loop: Header=BB2_129 Depth=3
	v_or_b32_e32 v62, 0x7e, v5
; %bb.238:                              ;   in Loop: Header=BB2_129 Depth=3
	s_or_b32 exec_lo, exec_lo, s9
                                        ; implicit-def: $vgpr5
.LBB2_239:                              ;   in Loop: Header=BB2_129 Depth=3
	s_and_not1_saveexec_b32 s9, s20
; %bb.240:                              ;   in Loop: Header=BB2_129 Depth=3
	v_or_b32_e32 v62, 0x7f, v5
; %bb.241:                              ;   in Loop: Header=BB2_129 Depth=3
	s_or_b32 exec_lo, exec_lo, s9
	v_lshrrev_b32_e32 v17, 16, v16
	v_lshrrev_b32_e32 v5, 16, v4
                                        ; implicit-def: $vgpr44
	s_delay_alu instid0(VALU_DEP_2) | instskip(NEXT) | instid1(VALU_DEP_1)
	v_and_b32_e32 v45, 0xff, v17
	v_cmp_ne_u16_e32 vcc_lo, 0, v45
	s_and_saveexec_b32 s9, s6
	s_delay_alu instid0(SALU_CYCLE_1)
	s_xor_b32 s20, exec_lo, s9
	s_cbranch_execz .LBB2_259
; %bb.242:                              ;   in Loop: Header=BB2_129 Depth=3
	v_dual_mov_b32 v47, 0 :: v_dual_mov_b32 v46, 0
	s_and_saveexec_b32 s21, vcc_lo
	s_cbranch_execz .LBB2_250
; %bb.243:                              ;   in Loop: Header=BB2_129 Depth=3
	v_bfrev_b32_e32 v46, 1
	s_mov_b32 s22, exec_lo
	v_cmpx_ne_u16_e32 0x80, v45
	s_cbranch_execz .LBB2_249
; %bb.244:                              ;   in Loop: Header=BB2_129 Depth=3
	v_bfe_u32 v73, v16, 16, 7
	v_mov_b32_e32 v46, 0x7f800001
	s_mov_b32 s23, exec_lo
	s_delay_alu instid0(VALU_DEP_2)
	v_cmpx_ne_u32_e32 0x7f, v73
	s_cbranch_execz .LBB2_248
; %bb.245:                              ;   in Loop: Header=BB2_129 Depth=3
	v_dual_mov_b32 v45, v55 :: v_dual_bitop2_b32 v44, 7, v17 bitop3:0x40
	v_lshrrev_b32_e32 v46, 3, v73
	s_mov_b32 s24, exec_lo
	v_cmpx_gt_u32_e32 8, v73
; %bb.246:                              ;   in Loop: Header=BB2_129 Depth=3
	s_delay_alu instid0(VALU_DEP_3) | instskip(NEXT) | instid1(VALU_DEP_1)
	v_clz_i32_u32_e32 v46, v44
	v_min_u32_e32 v46, 32, v46
	s_delay_alu instid0(VALU_DEP_1) | instskip(NEXT) | instid1(VALU_DEP_1)
	v_subrev_nc_u32_e32 v73, 28, v46
	v_lshlrev_b64_e32 v[44:45], v73, v[44:45]
	s_delay_alu instid0(VALU_DEP_1)
	v_dual_sub_nc_u32 v46, 29, v46 :: v_dual_bitop2_b32 v44, 7, v44 bitop3:0x40
; %bb.247:                              ;   in Loop: Header=BB2_129 Depth=3
	s_or_b32 exec_lo, exec_lo, s24
	s_delay_alu instid0(VALU_DEP_1) | instskip(NEXT) | instid1(VALU_DEP_2)
	v_dual_lshlrev_b32 v17, 24, v17 :: v_dual_lshlrev_b32 v44, 20, v44
	v_lshl_add_u32 v45, v46, 23, 0x3c000000
	s_delay_alu instid0(VALU_DEP_2) | instskip(NEXT) | instid1(VALU_DEP_1)
	v_and_b32_e32 v17, 0x80000000, v17
	v_or3_b32 v46, v44, v17, v45
.LBB2_248:                              ;   in Loop: Header=BB2_129 Depth=3
	s_or_b32 exec_lo, exec_lo, s23
.LBB2_249:                              ;   in Loop: Header=BB2_129 Depth=3
	s_delay_alu instid0(SALU_CYCLE_1)
	s_or_b32 exec_lo, exec_lo, s22
.LBB2_250:                              ;   in Loop: Header=BB2_129 Depth=3
	s_delay_alu instid0(SALU_CYCLE_1) | instskip(SKIP_2) | instid1(VALU_DEP_1)
	s_or_b32 exec_lo, exec_lo, s21
	v_and_b32_e32 v17, 0xff, v5
	s_mov_b32 s21, exec_lo
	v_cmpx_ne_u16_e32 0, v17
	s_cbranch_execz .LBB2_258
; %bb.251:                              ;   in Loop: Header=BB2_129 Depth=3
	v_bfrev_b32_e32 v47, 1
	s_mov_b32 s22, exec_lo
	v_cmpx_ne_u16_e32 0x80, v17
	s_cbranch_execz .LBB2_257
; %bb.252:                              ;   in Loop: Header=BB2_129 Depth=3
	v_bfe_u32 v73, v4, 16, 7
	v_mov_b32_e32 v47, 0x7f800001
	s_mov_b32 s23, exec_lo
	s_delay_alu instid0(VALU_DEP_2)
	v_cmpx_ne_u32_e32 0x7f, v73
	s_cbranch_execz .LBB2_256
; %bb.253:                              ;   in Loop: Header=BB2_129 Depth=3
	v_dual_mov_b32 v45, v55 :: v_dual_bitop2_b32 v44, 7, v5 bitop3:0x40
	v_lshrrev_b32_e32 v17, 3, v73
	s_mov_b32 s24, exec_lo
	v_cmpx_gt_u32_e32 8, v73
; %bb.254:                              ;   in Loop: Header=BB2_129 Depth=3
	s_delay_alu instid0(VALU_DEP_3) | instskip(NEXT) | instid1(VALU_DEP_1)
	v_clz_i32_u32_e32 v17, v44
	v_min_u32_e32 v17, 32, v17
	s_delay_alu instid0(VALU_DEP_1) | instskip(NEXT) | instid1(VALU_DEP_1)
	v_subrev_nc_u32_e32 v47, 28, v17
	v_lshlrev_b64_e32 v[44:45], v47, v[44:45]
	s_delay_alu instid0(VALU_DEP_1)
	v_dual_sub_nc_u32 v17, 29, v17 :: v_dual_bitop2_b32 v44, 7, v44 bitop3:0x40
; %bb.255:                              ;   in Loop: Header=BB2_129 Depth=3
	s_or_b32 exec_lo, exec_lo, s24
	s_delay_alu instid0(VALU_DEP_1) | instskip(NEXT) | instid1(VALU_DEP_2)
	v_dual_lshlrev_b32 v5, 24, v5 :: v_dual_lshlrev_b32 v44, 20, v44
	v_lshl_add_u32 v17, v17, 23, 0x3c000000
	s_delay_alu instid0(VALU_DEP_2) | instskip(NEXT) | instid1(VALU_DEP_1)
	v_and_b32_e32 v5, 0x80000000, v5
	v_or3_b32 v47, v44, v5, v17
.LBB2_256:                              ;   in Loop: Header=BB2_129 Depth=3
	s_or_b32 exec_lo, exec_lo, s23
.LBB2_257:                              ;   in Loop: Header=BB2_129 Depth=3
	s_delay_alu instid0(SALU_CYCLE_1)
	s_or_b32 exec_lo, exec_lo, s22
.LBB2_258:                              ;   in Loop: Header=BB2_129 Depth=3
	s_delay_alu instid0(SALU_CYCLE_1) | instskip(NEXT) | instid1(VALU_DEP_1)
	s_or_b32 exec_lo, exec_lo, s21
	v_dual_max_num_f32 v5, v47, v47 :: v_dual_max_num_f32 v17, v46, v46
                                        ; implicit-def: $vgpr45
	s_delay_alu instid0(VALU_DEP_1)
	v_max_num_f32_e32 v44, v17, v5
                                        ; implicit-def: $vgpr5
                                        ; implicit-def: $vgpr17
.LBB2_259:                              ;   in Loop: Header=BB2_129 Depth=3
	s_and_not1_saveexec_b32 s9, s20
	s_cbranch_execz .LBB2_277
; %bb.260:                              ;   in Loop: Header=BB2_129 Depth=3
	v_dual_mov_b32 v47, 0 :: v_dual_mov_b32 v46, 0
	s_and_saveexec_b32 s20, vcc_lo
	s_cbranch_execz .LBB2_268
; %bb.261:                              ;   in Loop: Header=BB2_129 Depth=3
	v_bfrev_b32_e32 v46, 1
	s_mov_b32 s21, exec_lo
	v_cmpx_ne_u16_e32 0x80, v45
	s_cbranch_execz .LBB2_267
; %bb.262:                              ;   in Loop: Header=BB2_129 Depth=3
	v_bfe_u32 v73, v16, 16, 7
	v_mov_b32_e32 v46, 0x7f800001
	s_mov_b32 s22, exec_lo
	s_delay_alu instid0(VALU_DEP_2)
	v_cmpx_ne_u32_e32 0x7f, v73
	s_cbranch_execz .LBB2_266
; %bb.263:                              ;   in Loop: Header=BB2_129 Depth=3
	v_dual_mov_b32 v45, v55 :: v_dual_bitop2_b32 v44, 7, v17 bitop3:0x40
	v_lshrrev_b32_e32 v46, 3, v73
	s_mov_b32 s23, exec_lo
	v_cmpx_gt_u32_e32 8, v73
; %bb.264:                              ;   in Loop: Header=BB2_129 Depth=3
	s_delay_alu instid0(VALU_DEP_3) | instskip(NEXT) | instid1(VALU_DEP_1)
	v_clz_i32_u32_e32 v46, v44
	v_min_u32_e32 v46, 32, v46
	s_delay_alu instid0(VALU_DEP_1) | instskip(NEXT) | instid1(VALU_DEP_1)
	v_subrev_nc_u32_e32 v73, 28, v46
	v_lshlrev_b64_e32 v[44:45], v73, v[44:45]
	s_delay_alu instid0(VALU_DEP_1)
	v_dual_sub_nc_u32 v46, 29, v46 :: v_dual_bitop2_b32 v44, 7, v44 bitop3:0x40
; %bb.265:                              ;   in Loop: Header=BB2_129 Depth=3
	s_or_b32 exec_lo, exec_lo, s23
	s_delay_alu instid0(VALU_DEP_1) | instskip(NEXT) | instid1(VALU_DEP_2)
	v_dual_lshlrev_b32 v17, 24, v17 :: v_dual_lshlrev_b32 v44, 20, v44
	v_lshl_add_u32 v45, v46, 23, 0x3c000000
	s_delay_alu instid0(VALU_DEP_2) | instskip(NEXT) | instid1(VALU_DEP_1)
	v_and_b32_e32 v17, 0x80000000, v17
	v_or3_b32 v46, v44, v17, v45
.LBB2_266:                              ;   in Loop: Header=BB2_129 Depth=3
	s_or_b32 exec_lo, exec_lo, s22
.LBB2_267:                              ;   in Loop: Header=BB2_129 Depth=3
	s_delay_alu instid0(SALU_CYCLE_1)
	s_or_b32 exec_lo, exec_lo, s21
.LBB2_268:                              ;   in Loop: Header=BB2_129 Depth=3
	s_delay_alu instid0(SALU_CYCLE_1) | instskip(SKIP_2) | instid1(VALU_DEP_1)
	s_or_b32 exec_lo, exec_lo, s20
	v_and_b32_e32 v17, 0xff, v5
	s_mov_b32 s20, exec_lo
	v_cmpx_ne_u16_e32 0, v17
	s_cbranch_execz .LBB2_276
; %bb.269:                              ;   in Loop: Header=BB2_129 Depth=3
	v_bfrev_b32_e32 v47, 1
	s_mov_b32 s21, exec_lo
	v_cmpx_ne_u16_e32 0x80, v17
	s_cbranch_execz .LBB2_275
; %bb.270:                              ;   in Loop: Header=BB2_129 Depth=3
	v_bfe_u32 v73, v4, 16, 7
	v_mov_b32_e32 v47, 0x7f800001
	s_mov_b32 s22, exec_lo
	s_delay_alu instid0(VALU_DEP_2)
	v_cmpx_ne_u32_e32 0x7f, v73
	s_cbranch_execz .LBB2_274
; %bb.271:                              ;   in Loop: Header=BB2_129 Depth=3
	v_dual_mov_b32 v45, v55 :: v_dual_bitop2_b32 v44, 7, v5 bitop3:0x40
	v_lshrrev_b32_e32 v17, 3, v73
	s_mov_b32 s23, exec_lo
	v_cmpx_gt_u32_e32 8, v73
; %bb.272:                              ;   in Loop: Header=BB2_129 Depth=3
	s_delay_alu instid0(VALU_DEP_3) | instskip(NEXT) | instid1(VALU_DEP_1)
	v_clz_i32_u32_e32 v17, v44
	v_min_u32_e32 v17, 32, v17
	s_delay_alu instid0(VALU_DEP_1) | instskip(NEXT) | instid1(VALU_DEP_1)
	v_subrev_nc_u32_e32 v47, 28, v17
	v_lshlrev_b64_e32 v[44:45], v47, v[44:45]
	s_delay_alu instid0(VALU_DEP_1)
	v_dual_sub_nc_u32 v17, 29, v17 :: v_dual_bitop2_b32 v44, 7, v44 bitop3:0x40
; %bb.273:                              ;   in Loop: Header=BB2_129 Depth=3
	s_or_b32 exec_lo, exec_lo, s23
	s_delay_alu instid0(VALU_DEP_1) | instskip(NEXT) | instid1(VALU_DEP_2)
	v_dual_lshlrev_b32 v5, 24, v5 :: v_dual_lshlrev_b32 v44, 20, v44
	v_lshl_add_u32 v17, v17, 23, 0x3c000000
	s_delay_alu instid0(VALU_DEP_2) | instskip(NEXT) | instid1(VALU_DEP_1)
	v_and_b32_e32 v5, 0x80000000, v5
	v_or3_b32 v47, v44, v5, v17
.LBB2_274:                              ;   in Loop: Header=BB2_129 Depth=3
	s_or_b32 exec_lo, exec_lo, s22
.LBB2_275:                              ;   in Loop: Header=BB2_129 Depth=3
	s_delay_alu instid0(SALU_CYCLE_1)
	s_or_b32 exec_lo, exec_lo, s21
.LBB2_276:                              ;   in Loop: Header=BB2_129 Depth=3
	s_delay_alu instid0(SALU_CYCLE_1) | instskip(NEXT) | instid1(VALU_DEP_1)
	s_or_b32 exec_lo, exec_lo, s20
	v_dual_max_num_f32 v5, v47, v47 :: v_dual_max_num_f32 v17, v46, v46
	s_delay_alu instid0(VALU_DEP_1)
	v_min_num_f32_e32 v44, v17, v5
.LBB2_277:                              ;   in Loop: Header=BB2_129 Depth=3
	s_or_b32 exec_lo, exec_lo, s9
	s_delay_alu instid0(VALU_DEP_1) | instskip(SKIP_1) | instid1(VALU_DEP_1)
	v_and_b32_e32 v46, 0x7f800000, v44
	v_dual_mov_b32 v47, v55 :: v_dual_lshrrev_b32 v5, 24, v44
	v_cmp_ne_u64_e32 vcc_lo, 0x7f800000, v[46:47]
                                        ; implicit-def: $vgpr46
	s_and_saveexec_b32 s9, vcc_lo
	s_delay_alu instid0(SALU_CYCLE_1)
	s_xor_b32 s20, exec_lo, s9
	s_cbranch_execz .LBB2_291
; %bb.278:                              ;   in Loop: Header=BB2_129 Depth=3
	v_and_b32_e32 v46, 0x7fffffff, v44
	v_mov_b32_e32 v47, v55
	v_and_b32_e32 v5, 0x80, v5
	s_delay_alu instid0(VALU_DEP_2) | instskip(SKIP_1) | instid1(SALU_CYCLE_1)
	v_cmp_gt_u64_e32 vcc_lo, 0x43e00001, v[46:47]
                                        ; implicit-def: $vgpr46
	s_and_saveexec_b32 s9, vcc_lo
	s_xor_b32 s21, exec_lo, s9
	s_cbranch_execz .LBB2_288
; %bb.279:                              ;   in Loop: Header=BB2_129 Depth=3
	v_mov_b32_e32 v46, 0
	s_mov_b32 s22, exec_lo
	v_cmpx_ne_u32_e32 0, v44
	s_cbranch_execz .LBB2_287
; %bb.280:                              ;   in Loop: Header=BB2_129 Depth=3
	v_bfe_u32 v17, v44, 23, 8
	v_and_b32_e32 v46, 0x7fffff, v44
	s_mov_b32 s23, exec_lo
	s_delay_alu instid0(VALU_DEP_2) | instskip(NEXT) | instid1(VALU_DEP_2)
	v_cmp_gt_u32_e32 vcc_lo, 0x7a, v17
	v_or_b32_e32 v47, 0x800000, v46
	v_sub_nc_u32_e32 v45, 0x79, v17
	s_delay_alu instid0(VALU_DEP_1) | instskip(SKIP_1) | instid1(VALU_DEP_4)
	v_cndmask_b32_e32 v45, 0, v45, vcc_lo
	v_cmp_eq_u32_e32 vcc_lo, 0, v17
	v_cndmask_b32_e32 v46, v47, v46, vcc_lo
	v_mov_b32_e32 v47, v55
	s_delay_alu instid0(VALU_DEP_4) | instskip(NEXT) | instid1(VALU_DEP_1)
	v_cndmask_b32_e64 v73, v45, 0x78, vcc_lo
	v_dual_add_nc_u32 v44, 20, v73 :: v_dual_add_nc_u32 v74, 19, v73
	s_delay_alu instid0(VALU_DEP_1) | instskip(NEXT) | instid1(VALU_DEP_2)
	v_lshlrev_b64_e64 v[44:45], v44, -1
	v_lshlrev_b64_e64 v[74:75], v74, 1
	s_delay_alu instid0(VALU_DEP_2) | instskip(NEXT) | instid1(VALU_DEP_3)
	v_bfi_b32 v77, v45, 0, 0
	v_bfi_b32 v76, v44, 0, v46
	v_lshrrev_b64 v[44:45], v73, v[46:47]
	s_delay_alu instid0(VALU_DEP_1) | instskip(NEXT) | instid1(VALU_DEP_3)
	v_mov_b64_e32 v[46:47], v[44:45]
	v_cmpx_eq_u64_e64 v[76:77], v[74:75]
; %bb.281:                              ;   in Loop: Header=BB2_129 Depth=3
	v_bfe_u32 v46, v44, 20, 1
	v_mov_b32_e32 v47, v55
	s_delay_alu instid0(VALU_DEP_1) | instskip(NEXT) | instid1(VALU_DEP_1)
	v_add_nc_u64_e32 v[46:47], v[44:45], v[46:47]
	v_add_nc_u64_e32 v[46:47], -1, v[46:47]
; %bb.282:                              ;   in Loop: Header=BB2_129 Depth=3
	s_or_b32 exec_lo, exec_lo, s23
	v_add_nc_u32_e32 v17, 0xffffff81, v17
	v_lshrrev_b32_e32 v45, 23, v44
	s_mov_b32 s9, exec_lo
	s_delay_alu instid0(VALU_DEP_2) | instskip(NEXT) | instid1(VALU_DEP_1)
	v_cndmask_b32_e64 v17, v17, 0xffffff82, vcc_lo
	v_add3_u32 v47, v73, v17, v45
	v_and_b32_e32 v17, 0xfffff, v46
	s_delay_alu instid0(VALU_DEP_2) | instskip(NEXT) | instid1(VALU_DEP_2)
	v_dual_mov_b32 v45, v55 :: v_dual_add_nc_u32 v46, 6, v47
	v_add_nc_u32_e32 v44, v17, v44
                                        ; implicit-def: $vgpr17
	s_delay_alu instid0(VALU_DEP_2)
	v_cmpx_ne_u32_e32 0, v46
	s_xor_b32 s9, exec_lo, s9
; %bb.283:                              ;   in Loop: Header=BB2_129 Depth=3
	s_delay_alu instid0(VALU_DEP_2) | instskip(SKIP_1) | instid1(VALU_DEP_1)
	v_cmp_lt_u64_e32 vcc_lo, 0xffffff, v[44:45]
	v_add_nc_u32_e32 v17, 7, v47
	v_cndmask_b32_e32 v17, v46, v17, vcc_lo
	v_cndmask_b32_e64 v46, 0, 1, vcc_lo
	s_delay_alu instid0(VALU_DEP_1)
	v_lshrrev_b64 v[44:45], v46, v[44:45]
; %bb.284:                              ;   in Loop: Header=BB2_129 Depth=3
	s_and_not1_saveexec_b32 s9, s9
; %bb.285:                              ;   in Loop: Header=BB2_129 Depth=3
	s_delay_alu instid0(VALU_DEP_1)
	v_bfe_u32 v17, v44, 23, 1
; %bb.286:                              ;   in Loop: Header=BB2_129 Depth=3
	s_or_b32 exec_lo, exec_lo, s9
	s_delay_alu instid0(VALU_DEP_2) | instskip(NEXT) | instid1(VALU_DEP_2)
	v_lshrrev_b64 v[44:45], 20, v[44:45]
	v_cmp_gt_i32_e32 vcc_lo, 16, v17
	v_min_i32_e32 v46, 15, v17
	v_cmp_eq_u32_e64 s9, 0, v17
	s_delay_alu instid0(VALU_DEP_2) | instskip(SKIP_1) | instid1(VALU_DEP_2)
	v_dual_cndmask_b32 v44, 7, v44, vcc_lo :: v_dual_lshlrev_b32 v46, 3, v46
	v_cndmask_b32_e32 v45, 0, v45, vcc_lo
	v_and_b32_e32 v46, 0xf8, v46
	s_delay_alu instid0(VALU_DEP_2) | instskip(NEXT) | instid1(VALU_DEP_2)
	v_cmp_eq_u64_e32 vcc_lo, 0, v[44:45]
	v_and_or_b32 v17, v44, 7, v46
	s_and_b32 s9, s9, vcc_lo
	s_delay_alu instid0(VALU_DEP_1) | instid1(SALU_CYCLE_1)
	v_cndmask_b32_e64 v17, v17, 0, s9
	s_delay_alu instid0(VALU_DEP_1)
	v_or_b32_e32 v46, v17, v5
.LBB2_287:                              ;   in Loop: Header=BB2_129 Depth=3
	s_or_b32 exec_lo, exec_lo, s22
                                        ; implicit-def: $vgpr5
.LBB2_288:                              ;   in Loop: Header=BB2_129 Depth=3
	s_and_not1_saveexec_b32 s9, s21
; %bb.289:                              ;   in Loop: Header=BB2_129 Depth=3
	v_or_b32_e32 v46, 0x7e, v5
; %bb.290:                              ;   in Loop: Header=BB2_129 Depth=3
	s_or_b32 exec_lo, exec_lo, s9
                                        ; implicit-def: $vgpr5
.LBB2_291:                              ;   in Loop: Header=BB2_129 Depth=3
	s_and_not1_saveexec_b32 s9, s20
; %bb.292:                              ;   in Loop: Header=BB2_129 Depth=3
	v_or_b32_e32 v46, 0x7f, v5
; %bb.293:                              ;   in Loop: Header=BB2_129 Depth=3
	s_or_b32 exec_lo, exec_lo, s9
	v_lshrrev_b32_e32 v5, 24, v16
	v_lshrrev_b32_e32 v44, 24, v4
	v_cmp_lt_u32_e32 vcc_lo, 0xffffff, v16
                                        ; implicit-def: $vgpr17
	s_and_saveexec_b32 s9, s6
	s_delay_alu instid0(SALU_CYCLE_1)
	s_xor_b32 s20, exec_lo, s9
	s_cbranch_execz .LBB2_311
; %bb.294:                              ;   in Loop: Header=BB2_129 Depth=3
	v_dual_mov_b32 v45, 0 :: v_dual_mov_b32 v17, 0
	s_and_saveexec_b32 s21, vcc_lo
	s_cbranch_execz .LBB2_302
; %bb.295:                              ;   in Loop: Header=BB2_129 Depth=3
	v_bfrev_b32_e32 v17, 1
	s_mov_b32 s22, exec_lo
	v_cmpx_ne_u32_e32 0x80, v5
	s_cbranch_execz .LBB2_301
; %bb.296:                              ;   in Loop: Header=BB2_129 Depth=3
	v_bfe_u32 v73, v16, 24, 7
	v_mov_b32_e32 v17, 0x7f800001
	s_mov_b32 s23, exec_lo
	s_delay_alu instid0(VALU_DEP_2)
	v_cmpx_ne_u32_e32 0x7f, v73
	s_cbranch_execz .LBB2_300
; %bb.297:                              ;   in Loop: Header=BB2_129 Depth=3
	v_dual_mov_b32 v17, v55 :: v_dual_bitop2_b32 v16, 7, v5 bitop3:0x40
	v_lshrrev_b32_e32 v47, 3, v73
	s_mov_b32 s24, exec_lo
	v_cmpx_gt_u32_e32 8, v73
; %bb.298:                              ;   in Loop: Header=BB2_129 Depth=3
	s_delay_alu instid0(VALU_DEP_3) | instskip(NEXT) | instid1(VALU_DEP_1)
	v_clz_i32_u32_e32 v47, v16
	v_min_u32_e32 v47, 32, v47
	s_delay_alu instid0(VALU_DEP_1) | instskip(NEXT) | instid1(VALU_DEP_1)
	v_subrev_nc_u32_e32 v73, 28, v47
	v_lshlrev_b64_e32 v[16:17], v73, v[16:17]
	s_delay_alu instid0(VALU_DEP_1)
	v_dual_sub_nc_u32 v47, 29, v47 :: v_dual_bitop2_b32 v16, 7, v16 bitop3:0x40
; %bb.299:                              ;   in Loop: Header=BB2_129 Depth=3
	s_or_b32 exec_lo, exec_lo, s24
	s_delay_alu instid0(VALU_DEP_1) | instskip(NEXT) | instid1(VALU_DEP_2)
	v_dual_lshlrev_b32 v5, 24, v5 :: v_dual_lshlrev_b32 v16, 20, v16
	v_lshl_add_u32 v17, v47, 23, 0x3c000000
	s_delay_alu instid0(VALU_DEP_2) | instskip(NEXT) | instid1(VALU_DEP_1)
	v_and_b32_e32 v5, 0x80000000, v5
	v_or3_b32 v17, v16, v5, v17
.LBB2_300:                              ;   in Loop: Header=BB2_129 Depth=3
	s_or_b32 exec_lo, exec_lo, s23
.LBB2_301:                              ;   in Loop: Header=BB2_129 Depth=3
	s_delay_alu instid0(SALU_CYCLE_1)
	s_or_b32 exec_lo, exec_lo, s22
.LBB2_302:                              ;   in Loop: Header=BB2_129 Depth=3
	s_delay_alu instid0(SALU_CYCLE_1) | instskip(NEXT) | instid1(SALU_CYCLE_1)
	s_or_b32 exec_lo, exec_lo, s21
	s_mov_b32 s21, exec_lo
	v_cmpx_lt_u32_e32 0xffffff, v4
	s_cbranch_execz .LBB2_310
; %bb.303:                              ;   in Loop: Header=BB2_129 Depth=3
	v_bfrev_b32_e32 v45, 1
	s_mov_b32 s22, exec_lo
	v_cmpx_ne_u32_e32 0x80, v44
	s_cbranch_execz .LBB2_309
; %bb.304:                              ;   in Loop: Header=BB2_129 Depth=3
	v_bfe_u32 v47, v4, 24, 7
	v_mov_b32_e32 v45, 0x7f800001
	s_mov_b32 s23, exec_lo
	s_delay_alu instid0(VALU_DEP_2)
	v_cmpx_ne_u32_e32 0x7f, v47
	s_cbranch_execz .LBB2_308
; %bb.305:                              ;   in Loop: Header=BB2_129 Depth=3
	v_dual_mov_b32 v5, v55 :: v_dual_bitop2_b32 v4, 7, v44 bitop3:0x40
	v_lshrrev_b32_e32 v16, 3, v47
	s_mov_b32 s24, exec_lo
	v_cmpx_gt_u32_e32 8, v47
; %bb.306:                              ;   in Loop: Header=BB2_129 Depth=3
	s_delay_alu instid0(VALU_DEP_3) | instskip(NEXT) | instid1(VALU_DEP_1)
	v_clz_i32_u32_e32 v16, v4
	v_min_u32_e32 v16, 32, v16
	s_delay_alu instid0(VALU_DEP_1) | instskip(SKIP_1) | instid1(VALU_DEP_2)
	v_subrev_nc_u32_e32 v45, 28, v16
	v_sub_nc_u32_e32 v16, 29, v16
	v_lshlrev_b64_e32 v[4:5], v45, v[4:5]
	s_delay_alu instid0(VALU_DEP_1)
	v_and_b32_e32 v4, 7, v4
; %bb.307:                              ;   in Loop: Header=BB2_129 Depth=3
	s_or_b32 exec_lo, exec_lo, s24
	v_lshlrev_b32_e32 v5, 24, v44
	s_delay_alu instid0(VALU_DEP_2) | instskip(SKIP_1) | instid1(VALU_DEP_3)
	v_lshlrev_b32_e32 v4, 20, v4
	v_lshl_add_u32 v16, v16, 23, 0x3c000000
	v_and_b32_e32 v5, 0x80000000, v5
	s_delay_alu instid0(VALU_DEP_1)
	v_or3_b32 v45, v4, v5, v16
.LBB2_308:                              ;   in Loop: Header=BB2_129 Depth=3
	s_or_b32 exec_lo, exec_lo, s23
.LBB2_309:                              ;   in Loop: Header=BB2_129 Depth=3
	s_delay_alu instid0(SALU_CYCLE_1)
	s_or_b32 exec_lo, exec_lo, s22
.LBB2_310:                              ;   in Loop: Header=BB2_129 Depth=3
	s_delay_alu instid0(SALU_CYCLE_1) | instskip(NEXT) | instid1(VALU_DEP_1)
	s_or_b32 exec_lo, exec_lo, s21
	v_max_num_f32_e32 v4, v45, v45
	v_max_num_f32_e32 v5, v17, v17
                                        ; implicit-def: $vgpr44
	s_delay_alu instid0(VALU_DEP_1)
	v_max_num_f32_e32 v17, v5, v4
                                        ; implicit-def: $vgpr4_vgpr5
                                        ; implicit-def: $vgpr5
.LBB2_311:                              ;   in Loop: Header=BB2_129 Depth=3
	s_and_not1_saveexec_b32 s9, s20
	s_cbranch_execz .LBB2_329
; %bb.312:                              ;   in Loop: Header=BB2_129 Depth=3
	v_dual_mov_b32 v45, 0 :: v_dual_mov_b32 v17, 0
	s_and_saveexec_b32 s20, vcc_lo
	s_cbranch_execz .LBB2_320
; %bb.313:                              ;   in Loop: Header=BB2_129 Depth=3
	v_bfrev_b32_e32 v17, 1
	s_mov_b32 s21, exec_lo
	v_cmpx_ne_u32_e32 0x80, v5
	s_cbranch_execz .LBB2_319
; %bb.314:                              ;   in Loop: Header=BB2_129 Depth=3
	v_bfe_u32 v73, v16, 24, 7
	v_mov_b32_e32 v17, 0x7f800001
	s_mov_b32 s22, exec_lo
	s_delay_alu instid0(VALU_DEP_2)
	v_cmpx_ne_u32_e32 0x7f, v73
	s_cbranch_execz .LBB2_318
; %bb.315:                              ;   in Loop: Header=BB2_129 Depth=3
	v_dual_mov_b32 v17, v55 :: v_dual_bitop2_b32 v16, 7, v5 bitop3:0x40
	v_lshrrev_b32_e32 v47, 3, v73
	s_mov_b32 s23, exec_lo
	v_cmpx_gt_u32_e32 8, v73
; %bb.316:                              ;   in Loop: Header=BB2_129 Depth=3
	s_delay_alu instid0(VALU_DEP_3) | instskip(NEXT) | instid1(VALU_DEP_1)
	v_clz_i32_u32_e32 v47, v16
	v_min_u32_e32 v47, 32, v47
	s_delay_alu instid0(VALU_DEP_1) | instskip(NEXT) | instid1(VALU_DEP_1)
	v_subrev_nc_u32_e32 v73, 28, v47
	v_lshlrev_b64_e32 v[16:17], v73, v[16:17]
	s_delay_alu instid0(VALU_DEP_1)
	v_dual_sub_nc_u32 v47, 29, v47 :: v_dual_bitop2_b32 v16, 7, v16 bitop3:0x40
; %bb.317:                              ;   in Loop: Header=BB2_129 Depth=3
	s_or_b32 exec_lo, exec_lo, s23
	s_delay_alu instid0(VALU_DEP_1) | instskip(NEXT) | instid1(VALU_DEP_2)
	v_dual_lshlrev_b32 v5, 24, v5 :: v_dual_lshlrev_b32 v16, 20, v16
	v_lshl_add_u32 v17, v47, 23, 0x3c000000
	s_delay_alu instid0(VALU_DEP_2) | instskip(NEXT) | instid1(VALU_DEP_1)
	v_and_b32_e32 v5, 0x80000000, v5
	v_or3_b32 v17, v16, v5, v17
.LBB2_318:                              ;   in Loop: Header=BB2_129 Depth=3
	s_or_b32 exec_lo, exec_lo, s22
.LBB2_319:                              ;   in Loop: Header=BB2_129 Depth=3
	s_delay_alu instid0(SALU_CYCLE_1)
	s_or_b32 exec_lo, exec_lo, s21
.LBB2_320:                              ;   in Loop: Header=BB2_129 Depth=3
	s_delay_alu instid0(SALU_CYCLE_1) | instskip(NEXT) | instid1(SALU_CYCLE_1)
	s_or_b32 exec_lo, exec_lo, s20
	s_mov_b32 s20, exec_lo
	v_cmpx_lt_u32_e32 0xffffff, v4
	s_cbranch_execz .LBB2_328
; %bb.321:                              ;   in Loop: Header=BB2_129 Depth=3
	v_bfrev_b32_e32 v45, 1
	s_mov_b32 s21, exec_lo
	v_cmpx_ne_u32_e32 0x80, v44
	s_cbranch_execz .LBB2_327
; %bb.322:                              ;   in Loop: Header=BB2_129 Depth=3
	v_bfe_u32 v47, v4, 24, 7
	v_mov_b32_e32 v45, 0x7f800001
	s_mov_b32 s22, exec_lo
	s_delay_alu instid0(VALU_DEP_2)
	v_cmpx_ne_u32_e32 0x7f, v47
	s_cbranch_execz .LBB2_326
; %bb.323:                              ;   in Loop: Header=BB2_129 Depth=3
	v_dual_mov_b32 v5, v55 :: v_dual_bitop2_b32 v4, 7, v44 bitop3:0x40
	v_lshrrev_b32_e32 v16, 3, v47
	s_mov_b32 s23, exec_lo
	v_cmpx_gt_u32_e32 8, v47
; %bb.324:                              ;   in Loop: Header=BB2_129 Depth=3
	s_delay_alu instid0(VALU_DEP_3) | instskip(NEXT) | instid1(VALU_DEP_1)
	v_clz_i32_u32_e32 v16, v4
	v_min_u32_e32 v16, 32, v16
	s_delay_alu instid0(VALU_DEP_1) | instskip(SKIP_1) | instid1(VALU_DEP_2)
	v_subrev_nc_u32_e32 v45, 28, v16
	v_sub_nc_u32_e32 v16, 29, v16
	v_lshlrev_b64_e32 v[4:5], v45, v[4:5]
	s_delay_alu instid0(VALU_DEP_1)
	v_and_b32_e32 v4, 7, v4
; %bb.325:                              ;   in Loop: Header=BB2_129 Depth=3
	s_or_b32 exec_lo, exec_lo, s23
	v_lshlrev_b32_e32 v5, 24, v44
	s_delay_alu instid0(VALU_DEP_2) | instskip(SKIP_1) | instid1(VALU_DEP_3)
	v_lshlrev_b32_e32 v4, 20, v4
	v_lshl_add_u32 v16, v16, 23, 0x3c000000
	v_and_b32_e32 v5, 0x80000000, v5
	s_delay_alu instid0(VALU_DEP_1)
	v_or3_b32 v45, v4, v5, v16
.LBB2_326:                              ;   in Loop: Header=BB2_129 Depth=3
	s_or_b32 exec_lo, exec_lo, s22
.LBB2_327:                              ;   in Loop: Header=BB2_129 Depth=3
	s_delay_alu instid0(SALU_CYCLE_1)
	s_or_b32 exec_lo, exec_lo, s21
.LBB2_328:                              ;   in Loop: Header=BB2_129 Depth=3
	s_delay_alu instid0(SALU_CYCLE_1) | instskip(NEXT) | instid1(VALU_DEP_1)
	s_or_b32 exec_lo, exec_lo, s20
	v_max_num_f32_e32 v4, v45, v45
	v_max_num_f32_e32 v5, v17, v17
	s_delay_alu instid0(VALU_DEP_1)
	v_min_num_f32_e32 v17, v5, v4
.LBB2_329:                              ;   in Loop: Header=BB2_129 Depth=3
	s_or_b32 exec_lo, exec_lo, s9
	s_delay_alu instid0(VALU_DEP_1) | instskip(SKIP_1) | instid1(VALU_DEP_1)
	v_and_b32_e32 v4, 0x7f800000, v17
	v_mov_b32_e32 v5, v55
                                        ; implicit-def: $vgpr47
	v_cmp_ne_u64_e32 vcc_lo, 0x7f800000, v[4:5]
	v_lshrrev_b32_e32 v4, 24, v17
	s_and_saveexec_b32 s9, vcc_lo
	s_delay_alu instid0(SALU_CYCLE_1)
	s_xor_b32 s20, exec_lo, s9
	s_cbranch_execz .LBB2_343
; %bb.330:                              ;   in Loop: Header=BB2_129 Depth=3
	v_and_b32_e32 v44, 0x7fffffff, v17
	v_mov_b32_e32 v45, v55
                                        ; implicit-def: $vgpr47
	s_delay_alu instid0(VALU_DEP_1) | instskip(SKIP_2) | instid1(SALU_CYCLE_1)
	v_cmp_gt_u64_e32 vcc_lo, 0x43e00001, v[44:45]
	v_and_b32_e32 v44, 0x80, v4
	s_and_saveexec_b32 s9, vcc_lo
	s_xor_b32 s21, exec_lo, s9
	s_cbranch_execz .LBB2_340
; %bb.331:                              ;   in Loop: Header=BB2_129 Depth=3
	v_mov_b32_e32 v47, 0
	s_mov_b32 s22, exec_lo
	v_cmpx_ne_u32_e32 0, v17
	s_cbranch_execz .LBB2_339
; %bb.332:                              ;   in Loop: Header=BB2_129 Depth=3
	v_bfe_u32 v45, v17, 23, 8
	v_and_b32_e32 v16, 0x7fffff, v17
	s_mov_b32 s23, exec_lo
	s_delay_alu instid0(VALU_DEP_2) | instskip(SKIP_1) | instid1(VALU_DEP_3)
	v_sub_nc_u32_e32 v4, 0x79, v45
	v_cmp_gt_u32_e32 vcc_lo, 0x7a, v45
	v_or_b32_e32 v17, 0x800000, v16
	s_delay_alu instid0(VALU_DEP_3) | instskip(SKIP_1) | instid1(VALU_DEP_2)
	v_cndmask_b32_e32 v4, 0, v4, vcc_lo
	v_cmp_eq_u32_e32 vcc_lo, 0, v45
	v_cndmask_b32_e64 v47, v4, 0x78, vcc_lo
	s_delay_alu instid0(VALU_DEP_4) | instskip(NEXT) | instid1(VALU_DEP_2)
	v_dual_cndmask_b32 v16, v17, v16 :: v_dual_mov_b32 v17, v55
	v_dual_add_nc_u32 v4, 20, v47 :: v_dual_add_nc_u32 v73, 19, v47
	s_delay_alu instid0(VALU_DEP_1) | instskip(NEXT) | instid1(VALU_DEP_2)
	v_lshlrev_b64_e64 v[4:5], v4, -1
	v_lshlrev_b64_e64 v[74:75], v73, 1
	s_delay_alu instid0(VALU_DEP_2) | instskip(NEXT) | instid1(VALU_DEP_3)
	v_bfi_b32 v77, v5, 0, 0
	v_bfi_b32 v76, v4, 0, v16
	v_lshrrev_b64 v[4:5], v47, v[16:17]
	s_delay_alu instid0(VALU_DEP_1) | instskip(NEXT) | instid1(VALU_DEP_3)
	v_mov_b64_e32 v[16:17], v[4:5]
	v_cmpx_eq_u64_e64 v[76:77], v[74:75]
; %bb.333:                              ;   in Loop: Header=BB2_129 Depth=3
	v_bfe_u32 v16, v4, 20, 1
	v_mov_b32_e32 v17, v55
	s_delay_alu instid0(VALU_DEP_1) | instskip(NEXT) | instid1(VALU_DEP_1)
	v_add_nc_u64_e32 v[16:17], v[4:5], v[16:17]
	v_add_nc_u64_e32 v[16:17], -1, v[16:17]
; %bb.334:                              ;   in Loop: Header=BB2_129 Depth=3
	s_or_b32 exec_lo, exec_lo, s23
	v_add_nc_u32_e32 v5, 0xffffff81, v45
	v_lshrrev_b32_e32 v17, 23, v4
	s_mov_b32 s9, exec_lo
	s_delay_alu instid0(VALU_DEP_2) | instskip(NEXT) | instid1(VALU_DEP_1)
	v_cndmask_b32_e64 v5, v5, 0xffffff82, vcc_lo
	v_add3_u32 v17, v47, v5, v17
	v_and_b32_e32 v5, 0xfffff, v16
                                        ; implicit-def: $vgpr16
	s_delay_alu instid0(VALU_DEP_1) | instskip(SKIP_1) | instid1(VALU_DEP_2)
	v_dual_add_nc_u32 v45, 6, v17 :: v_dual_add_nc_u32 v4, v5, v4
	v_mov_b32_e32 v5, v55
	v_cmpx_ne_u32_e32 0, v45
	s_xor_b32 s9, exec_lo, s9
; %bb.335:                              ;   in Loop: Header=BB2_129 Depth=3
	s_delay_alu instid0(VALU_DEP_2) | instskip(SKIP_2) | instid1(VALU_DEP_2)
	v_cmp_lt_u64_e32 vcc_lo, 0xffffff, v[4:5]
	v_add_nc_u32_e32 v16, 7, v17
	v_cndmask_b32_e64 v17, 0, 1, vcc_lo
	v_cndmask_b32_e32 v16, v45, v16, vcc_lo
	s_delay_alu instid0(VALU_DEP_2)
	v_lshrrev_b64 v[4:5], v17, v[4:5]
; %bb.336:                              ;   in Loop: Header=BB2_129 Depth=3
	s_and_not1_saveexec_b32 s9, s9
; %bb.337:                              ;   in Loop: Header=BB2_129 Depth=3
	s_delay_alu instid0(VALU_DEP_1)
	v_bfe_u32 v16, v4, 23, 1
; %bb.338:                              ;   in Loop: Header=BB2_129 Depth=3
	s_or_b32 exec_lo, exec_lo, s9
	s_delay_alu instid0(VALU_DEP_2) | instskip(NEXT) | instid1(VALU_DEP_2)
	v_lshrrev_b64 v[4:5], 20, v[4:5]
	v_cmp_gt_i32_e32 vcc_lo, 16, v16
	v_min_i32_e32 v17, 15, v16
	v_cmp_eq_u32_e64 s9, 0, v16
	s_delay_alu instid0(VALU_DEP_4) | instskip(NEXT) | instid1(VALU_DEP_3)
	v_cndmask_b32_e32 v5, 0, v5, vcc_lo
	v_dual_cndmask_b32 v4, 7, v4 :: v_dual_lshlrev_b32 v17, 3, v17
	s_delay_alu instid0(VALU_DEP_1) | instskip(NEXT) | instid1(VALU_DEP_2)
	v_and_b32_e32 v17, 0xf8, v17
	v_cmp_eq_u64_e32 vcc_lo, 0, v[4:5]
	s_delay_alu instid0(VALU_DEP_2)
	v_and_or_b32 v4, v4, 7, v17
	s_and_b32 s9, s9, vcc_lo
	s_delay_alu instid0(VALU_DEP_1) | instid1(SALU_CYCLE_1)
	v_cndmask_b32_e64 v4, v4, 0, s9
	s_delay_alu instid0(VALU_DEP_1)
	v_or_b32_e32 v47, v4, v44
.LBB2_339:                              ;   in Loop: Header=BB2_129 Depth=3
	s_or_b32 exec_lo, exec_lo, s22
                                        ; implicit-def: $vgpr44
.LBB2_340:                              ;   in Loop: Header=BB2_129 Depth=3
	s_and_not1_saveexec_b32 s9, s21
; %bb.341:                              ;   in Loop: Header=BB2_129 Depth=3
	v_or_b32_e32 v47, 0x7e, v44
; %bb.342:                              ;   in Loop: Header=BB2_129 Depth=3
	s_or_b32 exec_lo, exec_lo, s9
                                        ; implicit-def: $vgpr4
.LBB2_343:                              ;   in Loop: Header=BB2_129 Depth=3
	s_and_not1_saveexec_b32 s9, s20
; %bb.344:                              ;   in Loop: Header=BB2_129 Depth=3
	v_or_b32_e32 v47, 0x7f, v4
; %bb.345:                              ;   in Loop: Header=BB2_129 Depth=3
	s_or_b32 exec_lo, exec_lo, s9
	v_and_b32_e32 v44, 0xff, v18
	v_alignbit_b32 v4, v63, v72, v19
	v_dual_mov_b32 v5, v55 :: v_dual_mov_b32 v19, v55
                                        ; implicit-def: $vgpr16
	s_delay_alu instid0(VALU_DEP_3) | instskip(SKIP_1) | instid1(SALU_CYCLE_1)
	v_cmp_ne_u16_e32 vcc_lo, 0, v44
	s_and_saveexec_b32 s9, s6
	s_xor_b32 s20, exec_lo, s9
	s_cbranch_execz .LBB2_359
; %bb.346:                              ;   in Loop: Header=BB2_129 Depth=3
	v_dual_mov_b32 v17, 0 :: v_dual_mov_b32 v16, 0
	s_and_saveexec_b32 s21, vcc_lo
	s_cbranch_execz .LBB2_352
; %bb.347:                              ;   in Loop: Header=BB2_129 Depth=3
	v_bfrev_b32_e32 v16, 1
	s_mov_b32 s22, exec_lo
	v_cmpx_ne_u16_e32 0x80, v44
	s_cbranch_execz .LBB2_351
; %bb.348:                              ;   in Loop: Header=BB2_129 Depth=3
	v_and_b32_e32 v44, 0x7f, v18
	v_mov_b32_e32 v16, 0x7f800001
	s_mov_b32 s23, exec_lo
	s_delay_alu instid0(VALU_DEP_2)
	v_cmpx_ne_u32_e32 0x7f, v44
	s_cbranch_execz .LBB2_350
; %bb.349:                              ;   in Loop: Header=BB2_129 Depth=3
	v_dual_lshrrev_b32 v45, 3, v44 :: v_dual_bitop2_b32 v16, 7, v18 bitop3:0x40
	v_cmp_gt_u32_e64 s9, 8, v44
	s_delay_alu instid0(VALU_DEP_2) | instskip(NEXT) | instid1(VALU_DEP_1)
	v_clz_i32_u32_e32 v16, v16
	v_min_u32_e32 v16, 32, v16
	s_delay_alu instid0(VALU_DEP_1) | instskip(NEXT) | instid1(VALU_DEP_1)
	v_subrev_nc_u32_e32 v63, 28, v16
	v_dual_sub_nc_u32 v16, 29, v16 :: v_dual_cndmask_b32 v44, 0, v63, s9
	s_delay_alu instid0(VALU_DEP_1) | instskip(NEXT) | instid1(VALU_DEP_2)
	v_cndmask_b32_e64 v16, v45, v16, s9
	v_lshlrev_b64_e32 v[44:45], v44, v[18:19]
	v_lshlrev_b32_e32 v19, 24, v18
	s_delay_alu instid0(VALU_DEP_3) | instskip(NEXT) | instid1(VALU_DEP_2)
	v_lshl_add_u32 v16, v16, 23, 0x3c000000
	v_and_b32_e32 v19, 0x80000000, v19
	s_delay_alu instid0(VALU_DEP_4) | instskip(NEXT) | instid1(VALU_DEP_1)
	v_lshlrev_b32_e32 v44, 20, v44
	v_and_b32_e32 v44, 0x700000, v44
	s_delay_alu instid0(VALU_DEP_1)
	v_or3_b32 v16, v44, v19, v16
.LBB2_350:                              ;   in Loop: Header=BB2_129 Depth=3
	s_or_b32 exec_lo, exec_lo, s23
.LBB2_351:                              ;   in Loop: Header=BB2_129 Depth=3
	s_delay_alu instid0(SALU_CYCLE_1)
	s_or_b32 exec_lo, exec_lo, s22
.LBB2_352:                              ;   in Loop: Header=BB2_129 Depth=3
	s_delay_alu instid0(SALU_CYCLE_1) | instskip(SKIP_2) | instid1(VALU_DEP_1)
	s_or_b32 exec_lo, exec_lo, s21
	v_and_b32_e32 v19, 0xff, v4
	s_mov_b32 s21, exec_lo
	v_cmpx_ne_u16_e32 0, v19
	s_cbranch_execz .LBB2_358
; %bb.353:                              ;   in Loop: Header=BB2_129 Depth=3
	v_bfrev_b32_e32 v17, 1
	s_mov_b32 s22, exec_lo
	v_cmpx_ne_u16_e32 0x80, v19
	s_cbranch_execz .LBB2_357
; %bb.354:                              ;   in Loop: Header=BB2_129 Depth=3
	v_and_b32_e32 v19, 0x7f, v4
	v_mov_b32_e32 v17, 0x7f800001
	s_mov_b32 s23, exec_lo
	s_delay_alu instid0(VALU_DEP_2)
	v_cmpx_ne_u32_e32 0x7f, v19
	s_cbranch_execz .LBB2_356
; %bb.355:                              ;   in Loop: Header=BB2_129 Depth=3
	v_dual_lshrrev_b32 v44, 3, v19 :: v_dual_bitop2_b32 v17, 7, v4 bitop3:0x40
	v_cmp_gt_u32_e64 s9, 8, v19
	s_delay_alu instid0(VALU_DEP_2) | instskip(NEXT) | instid1(VALU_DEP_1)
	v_clz_i32_u32_e32 v17, v17
	v_min_u32_e32 v17, 32, v17
	s_delay_alu instid0(VALU_DEP_1) | instskip(SKIP_1) | instid1(VALU_DEP_2)
	v_subrev_nc_u32_e32 v45, 28, v17
	v_sub_nc_u32_e32 v17, 29, v17
	v_cndmask_b32_e64 v19, 0, v45, s9
	s_delay_alu instid0(VALU_DEP_2) | instskip(NEXT) | instid1(VALU_DEP_2)
	v_cndmask_b32_e64 v17, v44, v17, s9
	v_lshlrev_b64_e32 v[44:45], v19, v[4:5]
	v_lshlrev_b32_e32 v19, 24, v4
	s_delay_alu instid0(VALU_DEP_1) | instskip(NEXT) | instid1(VALU_DEP_3)
	v_and_b32_e32 v19, 0x80000000, v19
	v_lshlrev_b32_e32 v44, 20, v44
	v_lshl_add_u32 v17, v17, 23, 0x3c000000
	s_delay_alu instid0(VALU_DEP_2) | instskip(NEXT) | instid1(VALU_DEP_1)
	v_and_b32_e32 v44, 0x700000, v44
	v_or3_b32 v17, v44, v19, v17
.LBB2_356:                              ;   in Loop: Header=BB2_129 Depth=3
	s_or_b32 exec_lo, exec_lo, s23
.LBB2_357:                              ;   in Loop: Header=BB2_129 Depth=3
	s_delay_alu instid0(SALU_CYCLE_1)
	s_or_b32 exec_lo, exec_lo, s22
.LBB2_358:                              ;   in Loop: Header=BB2_129 Depth=3
	s_delay_alu instid0(SALU_CYCLE_1) | instskip(NEXT) | instid1(VALU_DEP_1)
	s_or_b32 exec_lo, exec_lo, s21
	v_dual_max_num_f32 v17, v17, v17 :: v_dual_max_num_f32 v16, v16, v16
                                        ; implicit-def: $vgpr44
	s_delay_alu instid0(VALU_DEP_1)
	v_max_num_f32_e32 v16, v16, v17
.LBB2_359:                              ;   in Loop: Header=BB2_129 Depth=3
	s_and_not1_saveexec_b32 s9, s20
	s_cbranch_execz .LBB2_373
; %bb.360:                              ;   in Loop: Header=BB2_129 Depth=3
	v_dual_mov_b32 v17, 0 :: v_dual_mov_b32 v16, 0
	s_and_saveexec_b32 s20, vcc_lo
	s_cbranch_execz .LBB2_366
; %bb.361:                              ;   in Loop: Header=BB2_129 Depth=3
	v_bfrev_b32_e32 v16, 1
	s_mov_b32 s21, exec_lo
	v_cmpx_ne_u16_e32 0x80, v44
	s_cbranch_execz .LBB2_365
; %bb.362:                              ;   in Loop: Header=BB2_129 Depth=3
	v_and_b32_e32 v44, 0x7f, v18
	v_mov_b32_e32 v16, 0x7f800001
	s_mov_b32 s22, exec_lo
	s_delay_alu instid0(VALU_DEP_2)
	v_cmpx_ne_u32_e32 0x7f, v44
	s_cbranch_execz .LBB2_364
; %bb.363:                              ;   in Loop: Header=BB2_129 Depth=3
	v_dual_lshrrev_b32 v45, 3, v44 :: v_dual_bitop2_b32 v16, 7, v18 bitop3:0x40
	v_cmp_gt_u32_e32 vcc_lo, 8, v44
	s_delay_alu instid0(VALU_DEP_2) | instskip(NEXT) | instid1(VALU_DEP_1)
	v_clz_i32_u32_e32 v16, v16
	v_min_u32_e32 v16, 32, v16
	s_delay_alu instid0(VALU_DEP_1) | instskip(NEXT) | instid1(VALU_DEP_1)
	v_subrev_nc_u32_e32 v63, 28, v16
	v_dual_sub_nc_u32 v16, 29, v16 :: v_dual_cndmask_b32 v44, 0, v63, vcc_lo
	s_delay_alu instid0(VALU_DEP_1) | instskip(NEXT) | instid1(VALU_DEP_2)
	v_cndmask_b32_e32 v16, v45, v16, vcc_lo
	v_lshlrev_b64_e32 v[44:45], v44, v[18:19]
	v_lshlrev_b32_e32 v19, 24, v18
	s_delay_alu instid0(VALU_DEP_3) | instskip(NEXT) | instid1(VALU_DEP_2)
	v_lshl_add_u32 v16, v16, 23, 0x3c000000
	v_and_b32_e32 v19, 0x80000000, v19
	s_delay_alu instid0(VALU_DEP_4) | instskip(NEXT) | instid1(VALU_DEP_1)
	v_lshlrev_b32_e32 v44, 20, v44
	v_and_b32_e32 v44, 0x700000, v44
	s_delay_alu instid0(VALU_DEP_1)
	v_or3_b32 v16, v44, v19, v16
.LBB2_364:                              ;   in Loop: Header=BB2_129 Depth=3
	s_or_b32 exec_lo, exec_lo, s22
.LBB2_365:                              ;   in Loop: Header=BB2_129 Depth=3
	s_delay_alu instid0(SALU_CYCLE_1)
	s_or_b32 exec_lo, exec_lo, s21
.LBB2_366:                              ;   in Loop: Header=BB2_129 Depth=3
	s_delay_alu instid0(SALU_CYCLE_1) | instskip(SKIP_2) | instid1(VALU_DEP_1)
	s_or_b32 exec_lo, exec_lo, s20
	v_and_b32_e32 v19, 0xff, v4
	s_mov_b32 s20, exec_lo
	v_cmpx_ne_u16_e32 0, v19
	s_cbranch_execz .LBB2_372
; %bb.367:                              ;   in Loop: Header=BB2_129 Depth=3
	v_bfrev_b32_e32 v17, 1
	s_mov_b32 s21, exec_lo
	v_cmpx_ne_u16_e32 0x80, v19
	s_cbranch_execz .LBB2_371
; %bb.368:                              ;   in Loop: Header=BB2_129 Depth=3
	v_and_b32_e32 v19, 0x7f, v4
	v_mov_b32_e32 v17, 0x7f800001
	s_mov_b32 s22, exec_lo
	s_delay_alu instid0(VALU_DEP_2)
	v_cmpx_ne_u32_e32 0x7f, v19
	s_cbranch_execz .LBB2_370
; %bb.369:                              ;   in Loop: Header=BB2_129 Depth=3
	v_dual_lshrrev_b32 v44, 3, v19 :: v_dual_bitop2_b32 v17, 7, v4 bitop3:0x40
	v_cmp_gt_u32_e32 vcc_lo, 8, v19
	s_delay_alu instid0(VALU_DEP_2) | instskip(NEXT) | instid1(VALU_DEP_1)
	v_clz_i32_u32_e32 v17, v17
	v_min_u32_e32 v17, 32, v17
	s_delay_alu instid0(VALU_DEP_1) | instskip(SKIP_1) | instid1(VALU_DEP_2)
	v_subrev_nc_u32_e32 v45, 28, v17
	v_sub_nc_u32_e32 v17, 29, v17
	v_cndmask_b32_e32 v19, 0, v45, vcc_lo
	s_delay_alu instid0(VALU_DEP_2) | instskip(NEXT) | instid1(VALU_DEP_2)
	v_cndmask_b32_e32 v17, v44, v17, vcc_lo
	v_lshlrev_b64_e32 v[44:45], v19, v[4:5]
	v_lshlrev_b32_e32 v5, 24, v4
	s_delay_alu instid0(VALU_DEP_1) | instskip(NEXT) | instid1(VALU_DEP_3)
	v_and_b32_e32 v5, 0x80000000, v5
	v_lshlrev_b32_e32 v19, 20, v44
	v_lshl_add_u32 v17, v17, 23, 0x3c000000
	s_delay_alu instid0(VALU_DEP_2) | instskip(NEXT) | instid1(VALU_DEP_1)
	v_and_b32_e32 v19, 0x700000, v19
	v_or3_b32 v17, v19, v5, v17
.LBB2_370:                              ;   in Loop: Header=BB2_129 Depth=3
	s_or_b32 exec_lo, exec_lo, s22
.LBB2_371:                              ;   in Loop: Header=BB2_129 Depth=3
	s_delay_alu instid0(SALU_CYCLE_1)
	s_or_b32 exec_lo, exec_lo, s21
.LBB2_372:                              ;   in Loop: Header=BB2_129 Depth=3
	s_delay_alu instid0(SALU_CYCLE_1) | instskip(NEXT) | instid1(VALU_DEP_1)
	s_or_b32 exec_lo, exec_lo, s20
	v_dual_max_num_f32 v5, v17, v17 :: v_dual_max_num_f32 v16, v16, v16
	s_delay_alu instid0(VALU_DEP_1)
	v_min_num_f32_e32 v16, v16, v5
.LBB2_373:                              ;   in Loop: Header=BB2_129 Depth=3
	s_or_b32 exec_lo, exec_lo, s9
	s_delay_alu instid0(VALU_DEP_1) | instskip(SKIP_2) | instid1(VALU_DEP_1)
	v_and_b32_e32 v44, 0x7f800000, v16
	v_dual_mov_b32 v45, v55 :: v_dual_lshrrev_b32 v5, 24, v16
                                        ; implicit-def: $vgpr63
	s_mov_b32 s9, exec_lo
	v_cmpx_ne_u64_e32 0x7f800000, v[44:45]
	s_xor_b32 s20, exec_lo, s9
	s_cbranch_execz .LBB2_387
; %bb.374:                              ;   in Loop: Header=BB2_129 Depth=3
	v_and_b32_e32 v44, 0x7fffffff, v16
	v_mov_b32_e32 v45, v55
	v_and_b32_e32 v5, 0x80, v5
                                        ; implicit-def: $vgpr63
	s_mov_b32 s9, exec_lo
	s_delay_alu instid0(VALU_DEP_2)
	v_cmpx_gt_u64_e32 0x43e00001, v[44:45]
	s_xor_b32 s21, exec_lo, s9
	s_cbranch_execz .LBB2_384
; %bb.375:                              ;   in Loop: Header=BB2_129 Depth=3
	v_mov_b32_e32 v63, 0
	s_mov_b32 s22, exec_lo
	v_cmpx_ne_u32_e32 0, v16
	s_cbranch_execz .LBB2_383
; %bb.376:                              ;   in Loop: Header=BB2_129 Depth=3
	v_bfe_u32 v19, v16, 23, 8
	v_and_b32_e32 v44, 0x7fffff, v16
	s_mov_b32 s23, exec_lo
	s_delay_alu instid0(VALU_DEP_2) | instskip(NEXT) | instid1(VALU_DEP_2)
	v_cmp_gt_u32_e32 vcc_lo, 0x7a, v19
	v_or_b32_e32 v45, 0x800000, v44
	v_sub_nc_u32_e32 v17, 0x79, v19
	s_delay_alu instid0(VALU_DEP_1) | instskip(SKIP_1) | instid1(VALU_DEP_2)
	v_cndmask_b32_e32 v17, 0, v17, vcc_lo
	v_cmp_eq_u32_e32 vcc_lo, 0, v19
	v_cndmask_b32_e64 v63, v17, 0x78, vcc_lo
	v_dual_cndmask_b32 v44, v45, v44 :: v_dual_mov_b32 v45, v55
	s_delay_alu instid0(VALU_DEP_2) | instskip(NEXT) | instid1(VALU_DEP_1)
	v_dual_add_nc_u32 v72, 19, v63 :: v_dual_add_nc_u32 v16, 20, v63
	v_lshlrev_b64_e64 v[72:73], v72, 1
	s_delay_alu instid0(VALU_DEP_2) | instskip(NEXT) | instid1(VALU_DEP_1)
	v_lshlrev_b64_e64 v[16:17], v16, -1
	v_bfi_b32 v75, v17, 0, 0
	s_delay_alu instid0(VALU_DEP_2) | instskip(SKIP_1) | instid1(VALU_DEP_1)
	v_bfi_b32 v74, v16, 0, v44
	v_lshrrev_b64 v[16:17], v63, v[44:45]
	v_mov_b64_e32 v[44:45], v[16:17]
	s_delay_alu instid0(VALU_DEP_3)
	v_cmpx_eq_u64_e64 v[74:75], v[72:73]
; %bb.377:                              ;   in Loop: Header=BB2_129 Depth=3
	v_bfe_u32 v44, v16, 20, 1
	v_mov_b32_e32 v45, v55
	s_delay_alu instid0(VALU_DEP_1) | instskip(NEXT) | instid1(VALU_DEP_1)
	v_add_nc_u64_e32 v[44:45], v[16:17], v[44:45]
	v_add_nc_u64_e32 v[44:45], -1, v[44:45]
; %bb.378:                              ;   in Loop: Header=BB2_129 Depth=3
	s_or_b32 exec_lo, exec_lo, s23
	v_add_nc_u32_e32 v17, 0xffffff81, v19
	v_lshrrev_b32_e32 v19, 23, v16
	s_mov_b32 s9, exec_lo
	s_delay_alu instid0(VALU_DEP_2) | instskip(NEXT) | instid1(VALU_DEP_1)
	v_cndmask_b32_e64 v17, v17, 0xffffff82, vcc_lo
	v_add3_u32 v45, v63, v17, v19
	v_and_b32_e32 v17, 0xfffff, v44
                                        ; implicit-def: $vgpr19
	s_delay_alu instid0(VALU_DEP_1) | instskip(SKIP_1) | instid1(VALU_DEP_2)
	v_dual_add_nc_u32 v44, 6, v45 :: v_dual_add_nc_u32 v16, v17, v16
	v_mov_b32_e32 v17, v55
	v_cmpx_ne_u32_e32 0, v44
	s_xor_b32 s9, exec_lo, s9
; %bb.379:                              ;   in Loop: Header=BB2_129 Depth=3
	s_delay_alu instid0(VALU_DEP_2) | instskip(SKIP_1) | instid1(VALU_DEP_1)
	v_cmp_lt_u64_e32 vcc_lo, 0xffffff, v[16:17]
	v_add_nc_u32_e32 v19, 7, v45
	v_cndmask_b32_e32 v19, v44, v19, vcc_lo
	v_cndmask_b32_e64 v44, 0, 1, vcc_lo
	s_delay_alu instid0(VALU_DEP_1)
	v_lshrrev_b64 v[16:17], v44, v[16:17]
; %bb.380:                              ;   in Loop: Header=BB2_129 Depth=3
	s_and_not1_saveexec_b32 s9, s9
; %bb.381:                              ;   in Loop: Header=BB2_129 Depth=3
	s_delay_alu instid0(VALU_DEP_1)
	v_bfe_u32 v19, v16, 23, 1
; %bb.382:                              ;   in Loop: Header=BB2_129 Depth=3
	s_or_b32 exec_lo, exec_lo, s9
	s_delay_alu instid0(VALU_DEP_2) | instskip(NEXT) | instid1(VALU_DEP_2)
	v_lshrrev_b64 v[16:17], 20, v[16:17]
	v_cmp_gt_i32_e32 vcc_lo, 16, v19
	v_min_i32_e32 v44, 15, v19
	v_cmp_eq_u32_e64 s9, 0, v19
	s_delay_alu instid0(VALU_DEP_2) | instskip(SKIP_1) | instid1(VALU_DEP_2)
	v_dual_cndmask_b32 v17, 0, v17 :: v_dual_lshlrev_b32 v44, 3, v44
	v_cndmask_b32_e32 v16, 7, v16, vcc_lo
	v_and_b32_e32 v44, 0xf8, v44
	s_delay_alu instid0(VALU_DEP_2) | instskip(NEXT) | instid1(VALU_DEP_2)
	v_cmp_eq_u64_e32 vcc_lo, 0, v[16:17]
	v_and_or_b32 v16, v16, 7, v44
	s_and_b32 s9, s9, vcc_lo
	s_delay_alu instid0(VALU_DEP_1) | instid1(SALU_CYCLE_1)
	v_cndmask_b32_e64 v16, v16, 0, s9
	s_delay_alu instid0(VALU_DEP_1)
	v_or_b32_e32 v63, v16, v5
.LBB2_383:                              ;   in Loop: Header=BB2_129 Depth=3
	s_or_b32 exec_lo, exec_lo, s22
                                        ; implicit-def: $vgpr5
.LBB2_384:                              ;   in Loop: Header=BB2_129 Depth=3
	s_and_not1_saveexec_b32 s9, s21
; %bb.385:                              ;   in Loop: Header=BB2_129 Depth=3
	v_or_b32_e32 v63, 0x7e, v5
; %bb.386:                              ;   in Loop: Header=BB2_129 Depth=3
	s_or_b32 exec_lo, exec_lo, s9
                                        ; implicit-def: $vgpr5
.LBB2_387:                              ;   in Loop: Header=BB2_129 Depth=3
	s_and_not1_saveexec_b32 s9, s20
; %bb.388:                              ;   in Loop: Header=BB2_129 Depth=3
	v_or_b32_e32 v63, 0x7f, v5
; %bb.389:                              ;   in Loop: Header=BB2_129 Depth=3
	s_or_b32 exec_lo, exec_lo, s9
	v_lshrrev_b16 v17, 8, v18
	v_lshrrev_b16 v5, 8, v4
                                        ; implicit-def: $vgpr16
	s_delay_alu instid0(VALU_DEP_2) | instskip(SKIP_1) | instid1(SALU_CYCLE_1)
	v_cmp_ne_u16_e32 vcc_lo, 0, v17
	s_and_saveexec_b32 s9, s6
	s_xor_b32 s20, exec_lo, s9
	s_cbranch_execz .LBB2_407
; %bb.390:                              ;   in Loop: Header=BB2_129 Depth=3
	v_dual_mov_b32 v44, 0 :: v_dual_mov_b32 v19, 0
	s_and_saveexec_b32 s21, vcc_lo
	s_cbranch_execz .LBB2_398
; %bb.391:                              ;   in Loop: Header=BB2_129 Depth=3
	v_bfrev_b32_e32 v19, 1
	s_mov_b32 s22, exec_lo
	v_cmpx_ne_u16_e32 0x80, v17
	s_cbranch_execz .LBB2_397
; %bb.392:                              ;   in Loop: Header=BB2_129 Depth=3
	v_and_b32_e32 v16, 0xffff, v17
	v_mov_b32_e32 v19, 0x7f800001
	s_mov_b32 s23, exec_lo
	s_delay_alu instid0(VALU_DEP_2) | instskip(NEXT) | instid1(VALU_DEP_1)
	v_and_b32_e32 v45, 0x7f, v16
	v_cmpx_ne_u32_e32 0x7f, v45
	s_cbranch_execz .LBB2_396
; %bb.393:                              ;   in Loop: Header=BB2_129 Depth=3
	v_dual_mov_b32 v17, v55 :: v_dual_bitop2_b32 v16, 7, v16 bitop3:0x40
	v_lshrrev_b32_e32 v19, 3, v45
	s_mov_b32 s24, exec_lo
	v_cmpx_gt_u32_e32 8, v45
; %bb.394:                              ;   in Loop: Header=BB2_129 Depth=3
	s_delay_alu instid0(VALU_DEP_3) | instskip(NEXT) | instid1(VALU_DEP_1)
	v_clz_i32_u32_e32 v19, v16
	v_min_u32_e32 v19, 32, v19
	s_delay_alu instid0(VALU_DEP_1) | instskip(NEXT) | instid1(VALU_DEP_1)
	v_subrev_nc_u32_e32 v45, 28, v19
	v_lshlrev_b64_e32 v[16:17], v45, v[16:17]
	s_delay_alu instid0(VALU_DEP_1)
	v_dual_sub_nc_u32 v19, 29, v19 :: v_dual_bitop2_b32 v16, 7, v16 bitop3:0x40
; %bb.395:                              ;   in Loop: Header=BB2_129 Depth=3
	s_or_b32 exec_lo, exec_lo, s24
	s_delay_alu instid0(VALU_DEP_1) | instskip(NEXT) | instid1(VALU_DEP_2)
	v_dual_lshlrev_b32 v17, 16, v18 :: v_dual_lshlrev_b32 v16, 20, v16
	v_lshl_add_u32 v19, v19, 23, 0x3c000000
	s_delay_alu instid0(VALU_DEP_2) | instskip(NEXT) | instid1(VALU_DEP_1)
	v_and_b32_e32 v17, 0x80000000, v17
	v_or3_b32 v19, v16, v17, v19
.LBB2_396:                              ;   in Loop: Header=BB2_129 Depth=3
	s_or_b32 exec_lo, exec_lo, s23
.LBB2_397:                              ;   in Loop: Header=BB2_129 Depth=3
	s_delay_alu instid0(SALU_CYCLE_1)
	s_or_b32 exec_lo, exec_lo, s22
.LBB2_398:                              ;   in Loop: Header=BB2_129 Depth=3
	s_delay_alu instid0(SALU_CYCLE_1) | instskip(NEXT) | instid1(SALU_CYCLE_1)
	s_or_b32 exec_lo, exec_lo, s21
	s_mov_b32 s21, exec_lo
	v_cmpx_ne_u16_e32 0, v5
	s_cbranch_execz .LBB2_406
; %bb.399:                              ;   in Loop: Header=BB2_129 Depth=3
	v_bfrev_b32_e32 v44, 1
	s_mov_b32 s22, exec_lo
	v_cmpx_ne_u16_e32 0x80, v5
	s_cbranch_execz .LBB2_405
; %bb.400:                              ;   in Loop: Header=BB2_129 Depth=3
	v_and_b32_e32 v5, 0xffff, v5
	v_mov_b32_e32 v44, 0x7f800001
	s_mov_b32 s23, exec_lo
	s_delay_alu instid0(VALU_DEP_2) | instskip(NEXT) | instid1(VALU_DEP_1)
	v_and_b32_e32 v45, 0x7f, v5
	v_cmpx_ne_u32_e32 0x7f, v45
	s_cbranch_execz .LBB2_404
; %bb.401:                              ;   in Loop: Header=BB2_129 Depth=3
	v_dual_mov_b32 v17, v55 :: v_dual_bitop2_b32 v16, 7, v5 bitop3:0x40
	v_lshrrev_b32_e32 v5, 3, v45
	s_mov_b32 s24, exec_lo
	v_cmpx_gt_u32_e32 8, v45
; %bb.402:                              ;   in Loop: Header=BB2_129 Depth=3
	s_delay_alu instid0(VALU_DEP_3) | instskip(NEXT) | instid1(VALU_DEP_1)
	v_clz_i32_u32_e32 v5, v16
	v_min_u32_e32 v5, 32, v5
	s_delay_alu instid0(VALU_DEP_1) | instskip(NEXT) | instid1(VALU_DEP_1)
	v_subrev_nc_u32_e32 v44, 28, v5
	v_lshlrev_b64_e32 v[16:17], v44, v[16:17]
	s_delay_alu instid0(VALU_DEP_1)
	v_dual_sub_nc_u32 v5, 29, v5 :: v_dual_bitop2_b32 v16, 7, v16 bitop3:0x40
; %bb.403:                              ;   in Loop: Header=BB2_129 Depth=3
	s_or_b32 exec_lo, exec_lo, s24
	v_lshlrev_b32_e32 v17, 16, v4
	s_delay_alu instid0(VALU_DEP_2) | instskip(NEXT) | instid1(VALU_DEP_3)
	v_lshlrev_b32_e32 v16, 20, v16
	v_lshl_add_u32 v5, v5, 23, 0x3c000000
	s_delay_alu instid0(VALU_DEP_3) | instskip(NEXT) | instid1(VALU_DEP_1)
	v_and_b32_e32 v17, 0x80000000, v17
	v_or3_b32 v44, v16, v17, v5
.LBB2_404:                              ;   in Loop: Header=BB2_129 Depth=3
	s_or_b32 exec_lo, exec_lo, s23
.LBB2_405:                              ;   in Loop: Header=BB2_129 Depth=3
	s_delay_alu instid0(SALU_CYCLE_1)
	s_or_b32 exec_lo, exec_lo, s22
.LBB2_406:                              ;   in Loop: Header=BB2_129 Depth=3
	s_delay_alu instid0(SALU_CYCLE_1) | instskip(NEXT) | instid1(VALU_DEP_1)
	s_or_b32 exec_lo, exec_lo, s21
	v_dual_max_num_f32 v5, v44, v44 :: v_dual_max_num_f32 v16, v19, v19
                                        ; implicit-def: $vgpr17
	s_delay_alu instid0(VALU_DEP_1)
	v_max_num_f32_e32 v16, v16, v5
                                        ; implicit-def: $vgpr5
.LBB2_407:                              ;   in Loop: Header=BB2_129 Depth=3
	s_and_not1_saveexec_b32 s9, s20
	s_cbranch_execz .LBB2_425
; %bb.408:                              ;   in Loop: Header=BB2_129 Depth=3
	v_dual_mov_b32 v44, 0 :: v_dual_mov_b32 v19, 0
	s_and_saveexec_b32 s20, vcc_lo
	s_cbranch_execz .LBB2_416
; %bb.409:                              ;   in Loop: Header=BB2_129 Depth=3
	v_bfrev_b32_e32 v19, 1
	s_mov_b32 s21, exec_lo
	v_cmpx_ne_u16_e32 0x80, v17
	s_cbranch_execz .LBB2_415
; %bb.410:                              ;   in Loop: Header=BB2_129 Depth=3
	v_and_b32_e32 v16, 0xffff, v17
	v_mov_b32_e32 v19, 0x7f800001
	s_mov_b32 s22, exec_lo
	s_delay_alu instid0(VALU_DEP_2) | instskip(NEXT) | instid1(VALU_DEP_1)
	v_and_b32_e32 v45, 0x7f, v16
	v_cmpx_ne_u32_e32 0x7f, v45
	s_cbranch_execz .LBB2_414
; %bb.411:                              ;   in Loop: Header=BB2_129 Depth=3
	v_dual_mov_b32 v17, v55 :: v_dual_bitop2_b32 v16, 7, v16 bitop3:0x40
	v_lshrrev_b32_e32 v19, 3, v45
	s_mov_b32 s23, exec_lo
	v_cmpx_gt_u32_e32 8, v45
; %bb.412:                              ;   in Loop: Header=BB2_129 Depth=3
	s_delay_alu instid0(VALU_DEP_3) | instskip(NEXT) | instid1(VALU_DEP_1)
	v_clz_i32_u32_e32 v19, v16
	v_min_u32_e32 v19, 32, v19
	s_delay_alu instid0(VALU_DEP_1) | instskip(NEXT) | instid1(VALU_DEP_1)
	v_subrev_nc_u32_e32 v45, 28, v19
	v_lshlrev_b64_e32 v[16:17], v45, v[16:17]
	s_delay_alu instid0(VALU_DEP_1)
	v_dual_sub_nc_u32 v19, 29, v19 :: v_dual_bitop2_b32 v16, 7, v16 bitop3:0x40
; %bb.413:                              ;   in Loop: Header=BB2_129 Depth=3
	s_or_b32 exec_lo, exec_lo, s23
	s_delay_alu instid0(VALU_DEP_1) | instskip(NEXT) | instid1(VALU_DEP_2)
	v_dual_lshlrev_b32 v17, 16, v18 :: v_dual_lshlrev_b32 v16, 20, v16
	v_lshl_add_u32 v19, v19, 23, 0x3c000000
	s_delay_alu instid0(VALU_DEP_2) | instskip(NEXT) | instid1(VALU_DEP_1)
	v_and_b32_e32 v17, 0x80000000, v17
	v_or3_b32 v19, v16, v17, v19
.LBB2_414:                              ;   in Loop: Header=BB2_129 Depth=3
	s_or_b32 exec_lo, exec_lo, s22
.LBB2_415:                              ;   in Loop: Header=BB2_129 Depth=3
	s_delay_alu instid0(SALU_CYCLE_1)
	s_or_b32 exec_lo, exec_lo, s21
.LBB2_416:                              ;   in Loop: Header=BB2_129 Depth=3
	s_delay_alu instid0(SALU_CYCLE_1) | instskip(NEXT) | instid1(SALU_CYCLE_1)
	s_or_b32 exec_lo, exec_lo, s20
	s_mov_b32 s20, exec_lo
	v_cmpx_ne_u16_e32 0, v5
	s_cbranch_execz .LBB2_424
; %bb.417:                              ;   in Loop: Header=BB2_129 Depth=3
	v_bfrev_b32_e32 v44, 1
	s_mov_b32 s21, exec_lo
	v_cmpx_ne_u16_e32 0x80, v5
	s_cbranch_execz .LBB2_423
; %bb.418:                              ;   in Loop: Header=BB2_129 Depth=3
	v_and_b32_e32 v5, 0xffff, v5
	v_mov_b32_e32 v44, 0x7f800001
	s_mov_b32 s22, exec_lo
	s_delay_alu instid0(VALU_DEP_2) | instskip(NEXT) | instid1(VALU_DEP_1)
	v_and_b32_e32 v45, 0x7f, v5
	v_cmpx_ne_u32_e32 0x7f, v45
	s_cbranch_execz .LBB2_422
; %bb.419:                              ;   in Loop: Header=BB2_129 Depth=3
	v_dual_mov_b32 v17, v55 :: v_dual_bitop2_b32 v16, 7, v5 bitop3:0x40
	v_lshrrev_b32_e32 v5, 3, v45
	s_mov_b32 s23, exec_lo
	v_cmpx_gt_u32_e32 8, v45
; %bb.420:                              ;   in Loop: Header=BB2_129 Depth=3
	s_delay_alu instid0(VALU_DEP_3) | instskip(NEXT) | instid1(VALU_DEP_1)
	v_clz_i32_u32_e32 v5, v16
	v_min_u32_e32 v5, 32, v5
	s_delay_alu instid0(VALU_DEP_1) | instskip(NEXT) | instid1(VALU_DEP_1)
	v_subrev_nc_u32_e32 v44, 28, v5
	v_lshlrev_b64_e32 v[16:17], v44, v[16:17]
	s_delay_alu instid0(VALU_DEP_1)
	v_dual_sub_nc_u32 v5, 29, v5 :: v_dual_bitop2_b32 v16, 7, v16 bitop3:0x40
; %bb.421:                              ;   in Loop: Header=BB2_129 Depth=3
	s_or_b32 exec_lo, exec_lo, s23
	v_lshlrev_b32_e32 v17, 16, v4
	s_delay_alu instid0(VALU_DEP_2) | instskip(NEXT) | instid1(VALU_DEP_3)
	v_lshlrev_b32_e32 v16, 20, v16
	v_lshl_add_u32 v5, v5, 23, 0x3c000000
	s_delay_alu instid0(VALU_DEP_3) | instskip(NEXT) | instid1(VALU_DEP_1)
	v_and_b32_e32 v17, 0x80000000, v17
	v_or3_b32 v44, v16, v17, v5
.LBB2_422:                              ;   in Loop: Header=BB2_129 Depth=3
	s_or_b32 exec_lo, exec_lo, s22
.LBB2_423:                              ;   in Loop: Header=BB2_129 Depth=3
	s_delay_alu instid0(SALU_CYCLE_1)
	s_or_b32 exec_lo, exec_lo, s21
.LBB2_424:                              ;   in Loop: Header=BB2_129 Depth=3
	s_delay_alu instid0(SALU_CYCLE_1) | instskip(NEXT) | instid1(VALU_DEP_1)
	s_or_b32 exec_lo, exec_lo, s20
	v_dual_max_num_f32 v5, v44, v44 :: v_dual_max_num_f32 v16, v19, v19
	s_delay_alu instid0(VALU_DEP_1)
	v_min_num_f32_e32 v16, v16, v5
.LBB2_425:                              ;   in Loop: Header=BB2_129 Depth=3
	s_or_b32 exec_lo, exec_lo, s9
	s_delay_alu instid0(VALU_DEP_1) | instskip(SKIP_2) | instid1(VALU_DEP_1)
	v_and_b32_e32 v44, 0x7f800000, v16
	v_dual_mov_b32 v45, v55 :: v_dual_lshrrev_b32 v5, 24, v16
                                        ; implicit-def: $vgpr72
	s_mov_b32 s9, exec_lo
	v_cmpx_ne_u64_e32 0x7f800000, v[44:45]
	s_xor_b32 s20, exec_lo, s9
	s_cbranch_execz .LBB2_439
; %bb.426:                              ;   in Loop: Header=BB2_129 Depth=3
	v_and_b32_e32 v44, 0x7fffffff, v16
	v_mov_b32_e32 v45, v55
	v_and_b32_e32 v5, 0x80, v5
                                        ; implicit-def: $vgpr72
	s_mov_b32 s9, exec_lo
	s_delay_alu instid0(VALU_DEP_2)
	v_cmpx_gt_u64_e32 0x43e00001, v[44:45]
	s_xor_b32 s21, exec_lo, s9
	s_cbranch_execz .LBB2_436
; %bb.427:                              ;   in Loop: Header=BB2_129 Depth=3
	v_mov_b32_e32 v72, 0
	s_mov_b32 s22, exec_lo
	v_cmpx_ne_u32_e32 0, v16
	s_cbranch_execz .LBB2_435
; %bb.428:                              ;   in Loop: Header=BB2_129 Depth=3
	v_bfe_u32 v19, v16, 23, 8
	v_and_b32_e32 v44, 0x7fffff, v16
	s_mov_b32 s23, exec_lo
	s_delay_alu instid0(VALU_DEP_2) | instskip(NEXT) | instid1(VALU_DEP_2)
	v_cmp_gt_u32_e32 vcc_lo, 0x7a, v19
	v_or_b32_e32 v45, 0x800000, v44
	v_sub_nc_u32_e32 v17, 0x79, v19
	s_delay_alu instid0(VALU_DEP_1) | instskip(SKIP_1) | instid1(VALU_DEP_2)
	v_cndmask_b32_e32 v17, 0, v17, vcc_lo
	v_cmp_eq_u32_e32 vcc_lo, 0, v19
	v_cndmask_b32_e64 v72, v17, 0x78, vcc_lo
	v_dual_cndmask_b32 v44, v45, v44 :: v_dual_mov_b32 v45, v55
	s_delay_alu instid0(VALU_DEP_2) | instskip(NEXT) | instid1(VALU_DEP_1)
	v_dual_add_nc_u32 v73, 19, v72 :: v_dual_add_nc_u32 v16, 20, v72
	v_lshlrev_b64_e64 v[74:75], v73, 1
	s_delay_alu instid0(VALU_DEP_2) | instskip(NEXT) | instid1(VALU_DEP_1)
	v_lshlrev_b64_e64 v[16:17], v16, -1
	v_bfi_b32 v77, v17, 0, 0
	s_delay_alu instid0(VALU_DEP_2) | instskip(SKIP_1) | instid1(VALU_DEP_1)
	v_bfi_b32 v76, v16, 0, v44
	v_lshrrev_b64 v[16:17], v72, v[44:45]
	v_mov_b64_e32 v[44:45], v[16:17]
	s_delay_alu instid0(VALU_DEP_3)
	v_cmpx_eq_u64_e64 v[76:77], v[74:75]
; %bb.429:                              ;   in Loop: Header=BB2_129 Depth=3
	v_bfe_u32 v44, v16, 20, 1
	v_mov_b32_e32 v45, v55
	s_delay_alu instid0(VALU_DEP_1) | instskip(NEXT) | instid1(VALU_DEP_1)
	v_add_nc_u64_e32 v[44:45], v[16:17], v[44:45]
	v_add_nc_u64_e32 v[44:45], -1, v[44:45]
; %bb.430:                              ;   in Loop: Header=BB2_129 Depth=3
	s_or_b32 exec_lo, exec_lo, s23
	v_add_nc_u32_e32 v17, 0xffffff81, v19
	v_lshrrev_b32_e32 v19, 23, v16
	s_mov_b32 s9, exec_lo
	s_delay_alu instid0(VALU_DEP_2) | instskip(NEXT) | instid1(VALU_DEP_1)
	v_cndmask_b32_e64 v17, v17, 0xffffff82, vcc_lo
	v_add3_u32 v45, v72, v17, v19
	v_and_b32_e32 v17, 0xfffff, v44
                                        ; implicit-def: $vgpr19
	s_delay_alu instid0(VALU_DEP_1) | instskip(SKIP_1) | instid1(VALU_DEP_2)
	v_dual_add_nc_u32 v44, 6, v45 :: v_dual_add_nc_u32 v16, v17, v16
	v_mov_b32_e32 v17, v55
	v_cmpx_ne_u32_e32 0, v44
	s_xor_b32 s9, exec_lo, s9
; %bb.431:                              ;   in Loop: Header=BB2_129 Depth=3
	s_delay_alu instid0(VALU_DEP_2) | instskip(SKIP_1) | instid1(VALU_DEP_1)
	v_cmp_lt_u64_e32 vcc_lo, 0xffffff, v[16:17]
	v_add_nc_u32_e32 v19, 7, v45
	v_cndmask_b32_e32 v19, v44, v19, vcc_lo
	v_cndmask_b32_e64 v44, 0, 1, vcc_lo
	s_delay_alu instid0(VALU_DEP_1)
	v_lshrrev_b64 v[16:17], v44, v[16:17]
; %bb.432:                              ;   in Loop: Header=BB2_129 Depth=3
	s_and_not1_saveexec_b32 s9, s9
; %bb.433:                              ;   in Loop: Header=BB2_129 Depth=3
	s_delay_alu instid0(VALU_DEP_1)
	v_bfe_u32 v19, v16, 23, 1
; %bb.434:                              ;   in Loop: Header=BB2_129 Depth=3
	s_or_b32 exec_lo, exec_lo, s9
	s_delay_alu instid0(VALU_DEP_2) | instskip(NEXT) | instid1(VALU_DEP_2)
	v_lshrrev_b64 v[16:17], 20, v[16:17]
	v_cmp_gt_i32_e32 vcc_lo, 16, v19
	v_min_i32_e32 v44, 15, v19
	v_cmp_eq_u32_e64 s9, 0, v19
	s_delay_alu instid0(VALU_DEP_2) | instskip(SKIP_1) | instid1(VALU_DEP_2)
	v_dual_cndmask_b32 v17, 0, v17 :: v_dual_lshlrev_b32 v44, 3, v44
	v_cndmask_b32_e32 v16, 7, v16, vcc_lo
	v_and_b32_e32 v44, 0xf8, v44
	s_delay_alu instid0(VALU_DEP_2) | instskip(NEXT) | instid1(VALU_DEP_2)
	v_cmp_eq_u64_e32 vcc_lo, 0, v[16:17]
	v_and_or_b32 v16, v16, 7, v44
	s_and_b32 s9, s9, vcc_lo
	s_delay_alu instid0(VALU_DEP_1) | instid1(SALU_CYCLE_1)
	v_cndmask_b32_e64 v16, v16, 0, s9
	s_delay_alu instid0(VALU_DEP_1)
	v_or_b32_e32 v72, v16, v5
.LBB2_435:                              ;   in Loop: Header=BB2_129 Depth=3
	s_or_b32 exec_lo, exec_lo, s22
                                        ; implicit-def: $vgpr5
.LBB2_436:                              ;   in Loop: Header=BB2_129 Depth=3
	s_and_not1_saveexec_b32 s9, s21
; %bb.437:                              ;   in Loop: Header=BB2_129 Depth=3
	v_or_b32_e32 v72, 0x7e, v5
; %bb.438:                              ;   in Loop: Header=BB2_129 Depth=3
	s_or_b32 exec_lo, exec_lo, s9
                                        ; implicit-def: $vgpr5
.LBB2_439:                              ;   in Loop: Header=BB2_129 Depth=3
	s_and_not1_saveexec_b32 s9, s20
; %bb.440:                              ;   in Loop: Header=BB2_129 Depth=3
	v_or_b32_e32 v72, 0x7f, v5
; %bb.441:                              ;   in Loop: Header=BB2_129 Depth=3
	s_or_b32 exec_lo, exec_lo, s9
	v_dual_lshrrev_b32 v19, 16, v18 :: v_dual_lshrrev_b32 v5, 16, v4
                                        ; implicit-def: $vgpr16
	s_delay_alu instid0(VALU_DEP_1) | instskip(NEXT) | instid1(VALU_DEP_1)
	v_and_b32_e32 v17, 0xff, v19
	v_cmp_ne_u16_e32 vcc_lo, 0, v17
	s_and_saveexec_b32 s9, s6
	s_delay_alu instid0(SALU_CYCLE_1)
	s_xor_b32 s20, exec_lo, s9
	s_cbranch_execz .LBB2_459
; %bb.442:                              ;   in Loop: Header=BB2_129 Depth=3
	v_dual_mov_b32 v45, 0 :: v_dual_mov_b32 v44, 0
	s_and_saveexec_b32 s21, vcc_lo
	s_cbranch_execz .LBB2_450
; %bb.443:                              ;   in Loop: Header=BB2_129 Depth=3
	v_bfrev_b32_e32 v44, 1
	s_mov_b32 s22, exec_lo
	v_cmpx_ne_u16_e32 0x80, v17
	s_cbranch_execz .LBB2_449
; %bb.444:                              ;   in Loop: Header=BB2_129 Depth=3
	v_bfe_u32 v73, v18, 16, 7
	v_mov_b32_e32 v44, 0x7f800001
	s_mov_b32 s23, exec_lo
	s_delay_alu instid0(VALU_DEP_2)
	v_cmpx_ne_u32_e32 0x7f, v73
	s_cbranch_execz .LBB2_448
; %bb.445:                              ;   in Loop: Header=BB2_129 Depth=3
	v_dual_mov_b32 v17, v55 :: v_dual_bitop2_b32 v16, 7, v19 bitop3:0x40
	v_lshrrev_b32_e32 v44, 3, v73
	s_mov_b32 s24, exec_lo
	v_cmpx_gt_u32_e32 8, v73
; %bb.446:                              ;   in Loop: Header=BB2_129 Depth=3
	s_delay_alu instid0(VALU_DEP_3) | instskip(NEXT) | instid1(VALU_DEP_1)
	v_clz_i32_u32_e32 v44, v16
	v_min_u32_e32 v44, 32, v44
	s_delay_alu instid0(VALU_DEP_1) | instskip(SKIP_1) | instid1(VALU_DEP_2)
	v_subrev_nc_u32_e32 v73, 28, v44
	v_sub_nc_u32_e32 v44, 29, v44
	v_lshlrev_b64_e32 v[16:17], v73, v[16:17]
	s_delay_alu instid0(VALU_DEP_1)
	v_and_b32_e32 v16, 7, v16
; %bb.447:                              ;   in Loop: Header=BB2_129 Depth=3
	s_or_b32 exec_lo, exec_lo, s24
	s_delay_alu instid0(VALU_DEP_1) | instskip(SKIP_1) | instid1(VALU_DEP_2)
	v_dual_lshlrev_b32 v17, 24, v19 :: v_dual_lshlrev_b32 v16, 20, v16
	v_lshl_add_u32 v19, v44, 23, 0x3c000000
	v_and_b32_e32 v17, 0x80000000, v17
	s_delay_alu instid0(VALU_DEP_1)
	v_or3_b32 v44, v16, v17, v19
.LBB2_448:                              ;   in Loop: Header=BB2_129 Depth=3
	s_or_b32 exec_lo, exec_lo, s23
.LBB2_449:                              ;   in Loop: Header=BB2_129 Depth=3
	s_delay_alu instid0(SALU_CYCLE_1)
	s_or_b32 exec_lo, exec_lo, s22
.LBB2_450:                              ;   in Loop: Header=BB2_129 Depth=3
	s_delay_alu instid0(SALU_CYCLE_1) | instskip(SKIP_2) | instid1(VALU_DEP_1)
	s_or_b32 exec_lo, exec_lo, s21
	v_and_b32_e32 v16, 0xff, v5
	s_mov_b32 s21, exec_lo
	v_cmpx_ne_u16_e32 0, v16
	s_cbranch_execz .LBB2_458
; %bb.451:                              ;   in Loop: Header=BB2_129 Depth=3
	v_bfrev_b32_e32 v45, 1
	s_mov_b32 s22, exec_lo
	v_cmpx_ne_u16_e32 0x80, v16
	s_cbranch_execz .LBB2_457
; %bb.452:                              ;   in Loop: Header=BB2_129 Depth=3
	v_bfe_u32 v73, v4, 16, 7
	v_mov_b32_e32 v45, 0x7f800001
	s_mov_b32 s23, exec_lo
	s_delay_alu instid0(VALU_DEP_2)
	v_cmpx_ne_u32_e32 0x7f, v73
	s_cbranch_execz .LBB2_456
; %bb.453:                              ;   in Loop: Header=BB2_129 Depth=3
	v_dual_mov_b32 v17, v55 :: v_dual_bitop2_b32 v16, 7, v5 bitop3:0x40
	v_lshrrev_b32_e32 v19, 3, v73
	s_mov_b32 s24, exec_lo
	v_cmpx_gt_u32_e32 8, v73
; %bb.454:                              ;   in Loop: Header=BB2_129 Depth=3
	s_delay_alu instid0(VALU_DEP_3) | instskip(NEXT) | instid1(VALU_DEP_1)
	v_clz_i32_u32_e32 v19, v16
	v_min_u32_e32 v19, 32, v19
	s_delay_alu instid0(VALU_DEP_1) | instskip(NEXT) | instid1(VALU_DEP_1)
	v_subrev_nc_u32_e32 v45, 28, v19
	v_lshlrev_b64_e32 v[16:17], v45, v[16:17]
	s_delay_alu instid0(VALU_DEP_1)
	v_dual_sub_nc_u32 v19, 29, v19 :: v_dual_bitop2_b32 v16, 7, v16 bitop3:0x40
; %bb.455:                              ;   in Loop: Header=BB2_129 Depth=3
	s_or_b32 exec_lo, exec_lo, s24
	s_delay_alu instid0(VALU_DEP_1) | instskip(NEXT) | instid1(VALU_DEP_2)
	v_dual_lshlrev_b32 v5, 24, v5 :: v_dual_lshlrev_b32 v16, 20, v16
	v_lshl_add_u32 v17, v19, 23, 0x3c000000
	s_delay_alu instid0(VALU_DEP_2) | instskip(NEXT) | instid1(VALU_DEP_1)
	v_and_b32_e32 v5, 0x80000000, v5
	v_or3_b32 v45, v16, v5, v17
.LBB2_456:                              ;   in Loop: Header=BB2_129 Depth=3
	s_or_b32 exec_lo, exec_lo, s23
.LBB2_457:                              ;   in Loop: Header=BB2_129 Depth=3
	s_delay_alu instid0(SALU_CYCLE_1)
	s_or_b32 exec_lo, exec_lo, s22
.LBB2_458:                              ;   in Loop: Header=BB2_129 Depth=3
	s_delay_alu instid0(SALU_CYCLE_1) | instskip(NEXT) | instid1(VALU_DEP_1)
	s_or_b32 exec_lo, exec_lo, s21
	v_dual_max_num_f32 v5, v45, v45 :: v_dual_max_num_f32 v16, v44, v44
                                        ; implicit-def: $vgpr17
                                        ; implicit-def: $vgpr19
	s_delay_alu instid0(VALU_DEP_1)
	v_max_num_f32_e32 v16, v16, v5
                                        ; implicit-def: $vgpr5
.LBB2_459:                              ;   in Loop: Header=BB2_129 Depth=3
	s_and_not1_saveexec_b32 s9, s20
	s_cbranch_execz .LBB2_477
; %bb.460:                              ;   in Loop: Header=BB2_129 Depth=3
	v_dual_mov_b32 v45, 0 :: v_dual_mov_b32 v44, 0
	s_and_saveexec_b32 s20, vcc_lo
	s_cbranch_execz .LBB2_468
; %bb.461:                              ;   in Loop: Header=BB2_129 Depth=3
	v_bfrev_b32_e32 v44, 1
	s_mov_b32 s21, exec_lo
	v_cmpx_ne_u16_e32 0x80, v17
	s_cbranch_execz .LBB2_467
; %bb.462:                              ;   in Loop: Header=BB2_129 Depth=3
	v_bfe_u32 v73, v18, 16, 7
	v_mov_b32_e32 v44, 0x7f800001
	s_mov_b32 s22, exec_lo
	s_delay_alu instid0(VALU_DEP_2)
	v_cmpx_ne_u32_e32 0x7f, v73
	s_cbranch_execz .LBB2_466
; %bb.463:                              ;   in Loop: Header=BB2_129 Depth=3
	v_dual_mov_b32 v17, v55 :: v_dual_bitop2_b32 v16, 7, v19 bitop3:0x40
	v_lshrrev_b32_e32 v44, 3, v73
	s_mov_b32 s23, exec_lo
	v_cmpx_gt_u32_e32 8, v73
; %bb.464:                              ;   in Loop: Header=BB2_129 Depth=3
	s_delay_alu instid0(VALU_DEP_3) | instskip(NEXT) | instid1(VALU_DEP_1)
	v_clz_i32_u32_e32 v44, v16
	v_min_u32_e32 v44, 32, v44
	s_delay_alu instid0(VALU_DEP_1) | instskip(SKIP_1) | instid1(VALU_DEP_2)
	v_subrev_nc_u32_e32 v73, 28, v44
	v_sub_nc_u32_e32 v44, 29, v44
	v_lshlrev_b64_e32 v[16:17], v73, v[16:17]
	s_delay_alu instid0(VALU_DEP_1)
	v_and_b32_e32 v16, 7, v16
; %bb.465:                              ;   in Loop: Header=BB2_129 Depth=3
	s_or_b32 exec_lo, exec_lo, s23
	s_delay_alu instid0(VALU_DEP_1) | instskip(SKIP_1) | instid1(VALU_DEP_2)
	v_dual_lshlrev_b32 v17, 24, v19 :: v_dual_lshlrev_b32 v16, 20, v16
	v_lshl_add_u32 v19, v44, 23, 0x3c000000
	v_and_b32_e32 v17, 0x80000000, v17
	s_delay_alu instid0(VALU_DEP_1)
	v_or3_b32 v44, v16, v17, v19
.LBB2_466:                              ;   in Loop: Header=BB2_129 Depth=3
	s_or_b32 exec_lo, exec_lo, s22
.LBB2_467:                              ;   in Loop: Header=BB2_129 Depth=3
	s_delay_alu instid0(SALU_CYCLE_1)
	s_or_b32 exec_lo, exec_lo, s21
.LBB2_468:                              ;   in Loop: Header=BB2_129 Depth=3
	s_delay_alu instid0(SALU_CYCLE_1) | instskip(SKIP_2) | instid1(VALU_DEP_1)
	s_or_b32 exec_lo, exec_lo, s20
	v_and_b32_e32 v16, 0xff, v5
	s_mov_b32 s20, exec_lo
	v_cmpx_ne_u16_e32 0, v16
	s_cbranch_execz .LBB2_476
; %bb.469:                              ;   in Loop: Header=BB2_129 Depth=3
	v_bfrev_b32_e32 v45, 1
	s_mov_b32 s21, exec_lo
	v_cmpx_ne_u16_e32 0x80, v16
	s_cbranch_execz .LBB2_475
; %bb.470:                              ;   in Loop: Header=BB2_129 Depth=3
	v_bfe_u32 v73, v4, 16, 7
	v_mov_b32_e32 v45, 0x7f800001
	s_mov_b32 s22, exec_lo
	s_delay_alu instid0(VALU_DEP_2)
	v_cmpx_ne_u32_e32 0x7f, v73
	s_cbranch_execz .LBB2_474
; %bb.471:                              ;   in Loop: Header=BB2_129 Depth=3
	v_dual_mov_b32 v17, v55 :: v_dual_bitop2_b32 v16, 7, v5 bitop3:0x40
	v_lshrrev_b32_e32 v19, 3, v73
	s_mov_b32 s23, exec_lo
	v_cmpx_gt_u32_e32 8, v73
; %bb.472:                              ;   in Loop: Header=BB2_129 Depth=3
	s_delay_alu instid0(VALU_DEP_3) | instskip(NEXT) | instid1(VALU_DEP_1)
	v_clz_i32_u32_e32 v19, v16
	v_min_u32_e32 v19, 32, v19
	s_delay_alu instid0(VALU_DEP_1) | instskip(NEXT) | instid1(VALU_DEP_1)
	v_subrev_nc_u32_e32 v45, 28, v19
	v_lshlrev_b64_e32 v[16:17], v45, v[16:17]
	s_delay_alu instid0(VALU_DEP_1)
	v_dual_sub_nc_u32 v19, 29, v19 :: v_dual_bitop2_b32 v16, 7, v16 bitop3:0x40
; %bb.473:                              ;   in Loop: Header=BB2_129 Depth=3
	s_or_b32 exec_lo, exec_lo, s23
	s_delay_alu instid0(VALU_DEP_1) | instskip(NEXT) | instid1(VALU_DEP_2)
	v_dual_lshlrev_b32 v5, 24, v5 :: v_dual_lshlrev_b32 v16, 20, v16
	v_lshl_add_u32 v17, v19, 23, 0x3c000000
	s_delay_alu instid0(VALU_DEP_2) | instskip(NEXT) | instid1(VALU_DEP_1)
	v_and_b32_e32 v5, 0x80000000, v5
	v_or3_b32 v45, v16, v5, v17
.LBB2_474:                              ;   in Loop: Header=BB2_129 Depth=3
	s_or_b32 exec_lo, exec_lo, s22
.LBB2_475:                              ;   in Loop: Header=BB2_129 Depth=3
	s_delay_alu instid0(SALU_CYCLE_1)
	s_or_b32 exec_lo, exec_lo, s21
.LBB2_476:                              ;   in Loop: Header=BB2_129 Depth=3
	s_delay_alu instid0(SALU_CYCLE_1) | instskip(NEXT) | instid1(VALU_DEP_1)
	s_or_b32 exec_lo, exec_lo, s20
	v_dual_max_num_f32 v5, v45, v45 :: v_dual_max_num_f32 v16, v44, v44
	s_delay_alu instid0(VALU_DEP_1)
	v_min_num_f32_e32 v16, v16, v5
.LBB2_477:                              ;   in Loop: Header=BB2_129 Depth=3
	s_or_b32 exec_lo, exec_lo, s9
	s_delay_alu instid0(VALU_DEP_1) | instskip(SKIP_1) | instid1(VALU_DEP_1)
	v_and_b32_e32 v44, 0x7f800000, v16
	v_dual_mov_b32 v45, v55 :: v_dual_lshrrev_b32 v5, 24, v16
	v_cmp_ne_u64_e32 vcc_lo, 0x7f800000, v[44:45]
                                        ; implicit-def: $vgpr44
	s_and_saveexec_b32 s9, vcc_lo
	s_delay_alu instid0(SALU_CYCLE_1)
	s_xor_b32 s20, exec_lo, s9
	s_cbranch_execz .LBB2_491
; %bb.478:                              ;   in Loop: Header=BB2_129 Depth=3
	v_and_b32_e32 v44, 0x7fffffff, v16
	v_mov_b32_e32 v45, v55
	v_and_b32_e32 v5, 0x80, v5
	s_delay_alu instid0(VALU_DEP_2) | instskip(SKIP_1) | instid1(SALU_CYCLE_1)
	v_cmp_gt_u64_e32 vcc_lo, 0x43e00001, v[44:45]
                                        ; implicit-def: $vgpr44
	s_and_saveexec_b32 s9, vcc_lo
	s_xor_b32 s21, exec_lo, s9
	s_cbranch_execz .LBB2_488
; %bb.479:                              ;   in Loop: Header=BB2_129 Depth=3
	v_mov_b32_e32 v44, 0
	s_mov_b32 s22, exec_lo
	v_cmpx_ne_u32_e32 0, v16
	s_cbranch_execz .LBB2_487
; %bb.480:                              ;   in Loop: Header=BB2_129 Depth=3
	v_bfe_u32 v19, v16, 23, 8
	v_and_b32_e32 v44, 0x7fffff, v16
	s_mov_b32 s23, exec_lo
	s_delay_alu instid0(VALU_DEP_2) | instskip(NEXT) | instid1(VALU_DEP_2)
	v_cmp_gt_u32_e32 vcc_lo, 0x7a, v19
	v_or_b32_e32 v45, 0x800000, v44
	v_sub_nc_u32_e32 v17, 0x79, v19
	s_delay_alu instid0(VALU_DEP_1) | instskip(SKIP_1) | instid1(VALU_DEP_4)
	v_cndmask_b32_e32 v17, 0, v17, vcc_lo
	v_cmp_eq_u32_e32 vcc_lo, 0, v19
	v_dual_cndmask_b32 v44, v45, v44 :: v_dual_mov_b32 v45, v55
	s_delay_alu instid0(VALU_DEP_3) | instskip(NEXT) | instid1(VALU_DEP_1)
	v_cndmask_b32_e64 v73, v17, 0x78, vcc_lo
	v_dual_add_nc_u32 v16, 20, v73 :: v_dual_add_nc_u32 v74, 19, v73
	s_delay_alu instid0(VALU_DEP_1) | instskip(NEXT) | instid1(VALU_DEP_2)
	v_lshlrev_b64_e64 v[16:17], v16, -1
	v_lshlrev_b64_e64 v[74:75], v74, 1
	s_delay_alu instid0(VALU_DEP_2) | instskip(NEXT) | instid1(VALU_DEP_3)
	v_bfi_b32 v77, v17, 0, 0
	v_bfi_b32 v76, v16, 0, v44
	v_lshrrev_b64 v[16:17], v73, v[44:45]
	s_delay_alu instid0(VALU_DEP_1) | instskip(NEXT) | instid1(VALU_DEP_3)
	v_mov_b64_e32 v[44:45], v[16:17]
	v_cmpx_eq_u64_e64 v[76:77], v[74:75]
; %bb.481:                              ;   in Loop: Header=BB2_129 Depth=3
	v_bfe_u32 v44, v16, 20, 1
	v_mov_b32_e32 v45, v55
	s_delay_alu instid0(VALU_DEP_1) | instskip(NEXT) | instid1(VALU_DEP_1)
	v_add_nc_u64_e32 v[44:45], v[16:17], v[44:45]
	v_add_nc_u64_e32 v[44:45], -1, v[44:45]
; %bb.482:                              ;   in Loop: Header=BB2_129 Depth=3
	s_or_b32 exec_lo, exec_lo, s23
	v_add_nc_u32_e32 v17, 0xffffff81, v19
	v_lshrrev_b32_e32 v19, 23, v16
	s_mov_b32 s9, exec_lo
	s_delay_alu instid0(VALU_DEP_2) | instskip(NEXT) | instid1(VALU_DEP_1)
	v_cndmask_b32_e64 v17, v17, 0xffffff82, vcc_lo
	v_add3_u32 v45, v73, v17, v19
	v_and_b32_e32 v17, 0xfffff, v44
                                        ; implicit-def: $vgpr19
	s_delay_alu instid0(VALU_DEP_1) | instskip(SKIP_1) | instid1(VALU_DEP_2)
	v_dual_add_nc_u32 v44, 6, v45 :: v_dual_add_nc_u32 v16, v17, v16
	v_mov_b32_e32 v17, v55
	v_cmpx_ne_u32_e32 0, v44
	s_xor_b32 s9, exec_lo, s9
; %bb.483:                              ;   in Loop: Header=BB2_129 Depth=3
	s_delay_alu instid0(VALU_DEP_2) | instskip(SKIP_1) | instid1(VALU_DEP_1)
	v_cmp_lt_u64_e32 vcc_lo, 0xffffff, v[16:17]
	v_add_nc_u32_e32 v19, 7, v45
	v_cndmask_b32_e32 v19, v44, v19, vcc_lo
	v_cndmask_b32_e64 v44, 0, 1, vcc_lo
	s_delay_alu instid0(VALU_DEP_1)
	v_lshrrev_b64 v[16:17], v44, v[16:17]
; %bb.484:                              ;   in Loop: Header=BB2_129 Depth=3
	s_and_not1_saveexec_b32 s9, s9
; %bb.485:                              ;   in Loop: Header=BB2_129 Depth=3
	s_delay_alu instid0(VALU_DEP_1)
	v_bfe_u32 v19, v16, 23, 1
; %bb.486:                              ;   in Loop: Header=BB2_129 Depth=3
	s_or_b32 exec_lo, exec_lo, s9
	s_delay_alu instid0(VALU_DEP_2) | instskip(NEXT) | instid1(VALU_DEP_2)
	v_lshrrev_b64 v[16:17], 20, v[16:17]
	v_cmp_gt_i32_e32 vcc_lo, 16, v19
	v_min_i32_e32 v44, 15, v19
	v_cmp_eq_u32_e64 s9, 0, v19
	s_delay_alu instid0(VALU_DEP_2) | instskip(SKIP_1) | instid1(VALU_DEP_2)
	v_dual_cndmask_b32 v17, 0, v17 :: v_dual_lshlrev_b32 v44, 3, v44
	v_cndmask_b32_e32 v16, 7, v16, vcc_lo
	v_and_b32_e32 v44, 0xf8, v44
	s_delay_alu instid0(VALU_DEP_2) | instskip(NEXT) | instid1(VALU_DEP_2)
	v_cmp_eq_u64_e32 vcc_lo, 0, v[16:17]
	v_and_or_b32 v16, v16, 7, v44
	s_and_b32 s9, s9, vcc_lo
	s_delay_alu instid0(VALU_DEP_1) | instid1(SALU_CYCLE_1)
	v_cndmask_b32_e64 v16, v16, 0, s9
	s_delay_alu instid0(VALU_DEP_1)
	v_or_b32_e32 v44, v16, v5
.LBB2_487:                              ;   in Loop: Header=BB2_129 Depth=3
	s_or_b32 exec_lo, exec_lo, s22
                                        ; implicit-def: $vgpr5
.LBB2_488:                              ;   in Loop: Header=BB2_129 Depth=3
	s_and_not1_saveexec_b32 s9, s21
; %bb.489:                              ;   in Loop: Header=BB2_129 Depth=3
	v_or_b32_e32 v44, 0x7e, v5
; %bb.490:                              ;   in Loop: Header=BB2_129 Depth=3
	s_or_b32 exec_lo, exec_lo, s9
                                        ; implicit-def: $vgpr5
.LBB2_491:                              ;   in Loop: Header=BB2_129 Depth=3
	s_and_not1_saveexec_b32 s9, s20
; %bb.492:                              ;   in Loop: Header=BB2_129 Depth=3
	v_or_b32_e32 v44, 0x7f, v5
; %bb.493:                              ;   in Loop: Header=BB2_129 Depth=3
	s_or_b32 exec_lo, exec_lo, s9
	v_and_b32_e32 v16, 0xff000000, v18
	v_dual_mov_b32 v17, v55 :: v_dual_lshrrev_b32 v5, 24, v18
	v_lshrrev_b32_e32 v45, 24, v4
	s_delay_alu instid0(VALU_DEP_2) | instskip(SKIP_1) | instid1(SALU_CYCLE_1)
	v_cmp_ne_u64_e32 vcc_lo, 0, v[16:17]
                                        ; implicit-def: $vgpr16
	s_and_saveexec_b32 s9, s6
	s_xor_b32 s20, exec_lo, s9
	s_cbranch_execz .LBB2_511
; %bb.494:                              ;   in Loop: Header=BB2_129 Depth=3
	v_dual_mov_b32 v19, 0 :: v_dual_mov_b32 v16, 0
	s_and_saveexec_b32 s21, vcc_lo
	s_cbranch_execz .LBB2_502
; %bb.495:                              ;   in Loop: Header=BB2_129 Depth=3
	v_bfrev_b32_e32 v16, 1
	s_mov_b32 s22, exec_lo
	v_cmpx_ne_u32_e32 0x80, v5
	s_cbranch_execz .LBB2_501
; %bb.496:                              ;   in Loop: Header=BB2_129 Depth=3
	v_bfe_u32 v73, v18, 24, 7
	v_mov_b32_e32 v16, 0x7f800001
	s_mov_b32 s23, exec_lo
	s_delay_alu instid0(VALU_DEP_2)
	v_cmpx_ne_u32_e32 0x7f, v73
	s_cbranch_execz .LBB2_500
; %bb.497:                              ;   in Loop: Header=BB2_129 Depth=3
	v_dual_mov_b32 v17, v55 :: v_dual_bitop2_b32 v16, 7, v5 bitop3:0x40
	v_lshrrev_b32_e32 v18, 3, v73
	s_mov_b32 s24, exec_lo
	v_cmpx_gt_u32_e32 8, v73
; %bb.498:                              ;   in Loop: Header=BB2_129 Depth=3
	s_delay_alu instid0(VALU_DEP_3) | instskip(NEXT) | instid1(VALU_DEP_1)
	v_clz_i32_u32_e32 v18, v16
	v_min_u32_e32 v18, 32, v18
	s_delay_alu instid0(VALU_DEP_1) | instskip(NEXT) | instid1(VALU_DEP_1)
	v_subrev_nc_u32_e32 v73, 28, v18
	v_lshlrev_b64_e32 v[16:17], v73, v[16:17]
	s_delay_alu instid0(VALU_DEP_1)
	v_dual_sub_nc_u32 v18, 29, v18 :: v_dual_bitop2_b32 v16, 7, v16 bitop3:0x40
; %bb.499:                              ;   in Loop: Header=BB2_129 Depth=3
	s_or_b32 exec_lo, exec_lo, s24
	s_delay_alu instid0(VALU_DEP_1) | instskip(NEXT) | instid1(VALU_DEP_2)
	v_dual_lshlrev_b32 v5, 24, v5 :: v_dual_lshlrev_b32 v16, 20, v16
	v_lshl_add_u32 v17, v18, 23, 0x3c000000
	s_delay_alu instid0(VALU_DEP_2) | instskip(NEXT) | instid1(VALU_DEP_1)
	v_and_b32_e32 v5, 0x80000000, v5
	v_or3_b32 v16, v16, v5, v17
.LBB2_500:                              ;   in Loop: Header=BB2_129 Depth=3
	s_or_b32 exec_lo, exec_lo, s23
.LBB2_501:                              ;   in Loop: Header=BB2_129 Depth=3
	s_delay_alu instid0(SALU_CYCLE_1)
	s_or_b32 exec_lo, exec_lo, s22
.LBB2_502:                              ;   in Loop: Header=BB2_129 Depth=3
	s_delay_alu instid0(SALU_CYCLE_1) | instskip(NEXT) | instid1(SALU_CYCLE_1)
	s_or_b32 exec_lo, exec_lo, s21
	s_mov_b32 s21, exec_lo
	v_cmpx_lt_u32_e32 0xffffff, v4
	s_cbranch_execz .LBB2_510
; %bb.503:                              ;   in Loop: Header=BB2_129 Depth=3
	v_bfrev_b32_e32 v19, 1
	s_mov_b32 s22, exec_lo
	v_cmpx_ne_u32_e32 0x80, v45
	s_cbranch_execz .LBB2_509
; %bb.504:                              ;   in Loop: Header=BB2_129 Depth=3
	v_bfe_u32 v18, v4, 24, 7
	v_mov_b32_e32 v19, 0x7f800001
	s_mov_b32 s23, exec_lo
	s_delay_alu instid0(VALU_DEP_2)
	v_cmpx_ne_u32_e32 0x7f, v18
	s_cbranch_execz .LBB2_508
; %bb.505:                              ;   in Loop: Header=BB2_129 Depth=3
	v_dual_mov_b32 v5, v55 :: v_dual_bitop2_b32 v4, 7, v45 bitop3:0x40
	v_lshrrev_b32_e32 v17, 3, v18
	s_mov_b32 s24, exec_lo
	v_cmpx_gt_u32_e32 8, v18
; %bb.506:                              ;   in Loop: Header=BB2_129 Depth=3
	s_delay_alu instid0(VALU_DEP_3) | instskip(NEXT) | instid1(VALU_DEP_1)
	v_clz_i32_u32_e32 v17, v4
	v_min_u32_e32 v17, 32, v17
	s_delay_alu instid0(VALU_DEP_1) | instskip(NEXT) | instid1(VALU_DEP_1)
	v_subrev_nc_u32_e32 v18, 28, v17
	v_lshlrev_b64_e32 v[4:5], v18, v[4:5]
	s_delay_alu instid0(VALU_DEP_1)
	v_dual_sub_nc_u32 v17, 29, v17 :: v_dual_bitop2_b32 v4, 7, v4 bitop3:0x40
; %bb.507:                              ;   in Loop: Header=BB2_129 Depth=3
	s_or_b32 exec_lo, exec_lo, s24
	s_delay_alu instid0(VALU_DEP_1) | instskip(NEXT) | instid1(VALU_DEP_2)
	v_dual_lshlrev_b32 v5, 24, v45 :: v_dual_lshlrev_b32 v4, 20, v4
	v_lshl_add_u32 v17, v17, 23, 0x3c000000
	s_delay_alu instid0(VALU_DEP_2) | instskip(NEXT) | instid1(VALU_DEP_1)
	v_and_b32_e32 v5, 0x80000000, v5
	v_or3_b32 v19, v4, v5, v17
.LBB2_508:                              ;   in Loop: Header=BB2_129 Depth=3
	s_or_b32 exec_lo, exec_lo, s23
.LBB2_509:                              ;   in Loop: Header=BB2_129 Depth=3
	s_delay_alu instid0(SALU_CYCLE_1)
	s_or_b32 exec_lo, exec_lo, s22
.LBB2_510:                              ;   in Loop: Header=BB2_129 Depth=3
	s_delay_alu instid0(SALU_CYCLE_1) | instskip(NEXT) | instid1(VALU_DEP_1)
	s_or_b32 exec_lo, exec_lo, s21
	v_dual_max_num_f32 v4, v19, v19 :: v_dual_max_num_f32 v5, v16, v16
                                        ; implicit-def: $vgpr45
                                        ; implicit-def: $vgpr18_vgpr19
	s_delay_alu instid0(VALU_DEP_1)
	v_max_num_f32_e32 v16, v5, v4
                                        ; implicit-def: $vgpr4_vgpr5
                                        ; implicit-def: $vgpr5
.LBB2_511:                              ;   in Loop: Header=BB2_129 Depth=3
	s_and_not1_saveexec_b32 s9, s20
	s_cbranch_execz .LBB2_529
; %bb.512:                              ;   in Loop: Header=BB2_129 Depth=3
	v_dual_mov_b32 v19, 0 :: v_dual_mov_b32 v16, 0
	s_and_saveexec_b32 s20, vcc_lo
	s_cbranch_execz .LBB2_520
; %bb.513:                              ;   in Loop: Header=BB2_129 Depth=3
	v_bfrev_b32_e32 v16, 1
	s_mov_b32 s21, exec_lo
	v_cmpx_ne_u32_e32 0x80, v5
	s_cbranch_execz .LBB2_519
; %bb.514:                              ;   in Loop: Header=BB2_129 Depth=3
	v_bfe_u32 v73, v18, 24, 7
	v_mov_b32_e32 v16, 0x7f800001
	s_mov_b32 s22, exec_lo
	s_delay_alu instid0(VALU_DEP_2)
	v_cmpx_ne_u32_e32 0x7f, v73
	s_cbranch_execz .LBB2_518
; %bb.515:                              ;   in Loop: Header=BB2_129 Depth=3
	v_dual_mov_b32 v17, v55 :: v_dual_bitop2_b32 v16, 7, v5 bitop3:0x40
	v_lshrrev_b32_e32 v18, 3, v73
	s_mov_b32 s23, exec_lo
	v_cmpx_gt_u32_e32 8, v73
; %bb.516:                              ;   in Loop: Header=BB2_129 Depth=3
	s_delay_alu instid0(VALU_DEP_3) | instskip(NEXT) | instid1(VALU_DEP_1)
	v_clz_i32_u32_e32 v18, v16
	v_min_u32_e32 v18, 32, v18
	s_delay_alu instid0(VALU_DEP_1) | instskip(NEXT) | instid1(VALU_DEP_1)
	v_subrev_nc_u32_e32 v73, 28, v18
	v_lshlrev_b64_e32 v[16:17], v73, v[16:17]
	s_delay_alu instid0(VALU_DEP_1)
	v_dual_sub_nc_u32 v18, 29, v18 :: v_dual_bitop2_b32 v16, 7, v16 bitop3:0x40
; %bb.517:                              ;   in Loop: Header=BB2_129 Depth=3
	s_or_b32 exec_lo, exec_lo, s23
	s_delay_alu instid0(VALU_DEP_1) | instskip(NEXT) | instid1(VALU_DEP_2)
	v_dual_lshlrev_b32 v5, 24, v5 :: v_dual_lshlrev_b32 v16, 20, v16
	v_lshl_add_u32 v17, v18, 23, 0x3c000000
	s_delay_alu instid0(VALU_DEP_2) | instskip(NEXT) | instid1(VALU_DEP_1)
	v_and_b32_e32 v5, 0x80000000, v5
	v_or3_b32 v16, v16, v5, v17
.LBB2_518:                              ;   in Loop: Header=BB2_129 Depth=3
	s_or_b32 exec_lo, exec_lo, s22
.LBB2_519:                              ;   in Loop: Header=BB2_129 Depth=3
	s_delay_alu instid0(SALU_CYCLE_1)
	s_or_b32 exec_lo, exec_lo, s21
.LBB2_520:                              ;   in Loop: Header=BB2_129 Depth=3
	s_delay_alu instid0(SALU_CYCLE_1) | instskip(NEXT) | instid1(SALU_CYCLE_1)
	s_or_b32 exec_lo, exec_lo, s20
	s_mov_b32 s20, exec_lo
	v_cmpx_lt_u32_e32 0xffffff, v4
	s_cbranch_execz .LBB2_528
; %bb.521:                              ;   in Loop: Header=BB2_129 Depth=3
	v_bfrev_b32_e32 v19, 1
	s_mov_b32 s21, exec_lo
	v_cmpx_ne_u32_e32 0x80, v45
	s_cbranch_execz .LBB2_527
; %bb.522:                              ;   in Loop: Header=BB2_129 Depth=3
	v_bfe_u32 v18, v4, 24, 7
	v_mov_b32_e32 v19, 0x7f800001
	s_mov_b32 s22, exec_lo
	s_delay_alu instid0(VALU_DEP_2)
	v_cmpx_ne_u32_e32 0x7f, v18
	s_cbranch_execz .LBB2_526
; %bb.523:                              ;   in Loop: Header=BB2_129 Depth=3
	v_dual_mov_b32 v5, v55 :: v_dual_bitop2_b32 v4, 7, v45 bitop3:0x40
	v_lshrrev_b32_e32 v17, 3, v18
	s_mov_b32 s23, exec_lo
	v_cmpx_gt_u32_e32 8, v18
; %bb.524:                              ;   in Loop: Header=BB2_129 Depth=3
	s_delay_alu instid0(VALU_DEP_3) | instskip(NEXT) | instid1(VALU_DEP_1)
	v_clz_i32_u32_e32 v17, v4
	v_min_u32_e32 v17, 32, v17
	s_delay_alu instid0(VALU_DEP_1) | instskip(NEXT) | instid1(VALU_DEP_1)
	v_subrev_nc_u32_e32 v18, 28, v17
	v_lshlrev_b64_e32 v[4:5], v18, v[4:5]
	s_delay_alu instid0(VALU_DEP_1)
	v_dual_sub_nc_u32 v17, 29, v17 :: v_dual_bitop2_b32 v4, 7, v4 bitop3:0x40
; %bb.525:                              ;   in Loop: Header=BB2_129 Depth=3
	s_or_b32 exec_lo, exec_lo, s23
	s_delay_alu instid0(VALU_DEP_1) | instskip(NEXT) | instid1(VALU_DEP_2)
	v_dual_lshlrev_b32 v5, 24, v45 :: v_dual_lshlrev_b32 v4, 20, v4
	v_lshl_add_u32 v17, v17, 23, 0x3c000000
	s_delay_alu instid0(VALU_DEP_2) | instskip(NEXT) | instid1(VALU_DEP_1)
	v_and_b32_e32 v5, 0x80000000, v5
	v_or3_b32 v19, v4, v5, v17
.LBB2_526:                              ;   in Loop: Header=BB2_129 Depth=3
	s_or_b32 exec_lo, exec_lo, s22
.LBB2_527:                              ;   in Loop: Header=BB2_129 Depth=3
	s_delay_alu instid0(SALU_CYCLE_1)
	s_or_b32 exec_lo, exec_lo, s21
.LBB2_528:                              ;   in Loop: Header=BB2_129 Depth=3
	s_delay_alu instid0(SALU_CYCLE_1) | instskip(NEXT) | instid1(VALU_DEP_1)
	s_or_b32 exec_lo, exec_lo, s20
	v_dual_max_num_f32 v4, v19, v19 :: v_dual_max_num_f32 v5, v16, v16
	s_delay_alu instid0(VALU_DEP_1)
	v_min_num_f32_e32 v16, v5, v4
.LBB2_529:                              ;   in Loop: Header=BB2_129 Depth=3
	s_or_b32 exec_lo, exec_lo, s9
	s_delay_alu instid0(VALU_DEP_1) | instskip(SKIP_1) | instid1(VALU_DEP_1)
	v_and_b32_e32 v4, 0x7f800000, v16
	v_mov_b32_e32 v5, v55
	v_cmp_ne_u64_e32 vcc_lo, 0x7f800000, v[4:5]
	v_lshrrev_b32_e32 v5, 24, v16
                                        ; implicit-def: $vgpr4
	s_and_saveexec_b32 s9, vcc_lo
	s_delay_alu instid0(SALU_CYCLE_1)
	s_xor_b32 s20, exec_lo, s9
	s_cbranch_execz .LBB2_543
; %bb.530:                              ;   in Loop: Header=BB2_129 Depth=3
	v_and_b32_e32 v18, 0x7fffffff, v16
	v_mov_b32_e32 v19, v55
                                        ; implicit-def: $vgpr4
	s_delay_alu instid0(VALU_DEP_1) | instskip(SKIP_2) | instid1(SALU_CYCLE_1)
	v_cmp_gt_u64_e32 vcc_lo, 0x43e00001, v[18:19]
	v_and_b32_e32 v18, 0x80, v5
	s_and_saveexec_b32 s9, vcc_lo
	s_xor_b32 s21, exec_lo, s9
	s_cbranch_execz .LBB2_540
; %bb.531:                              ;   in Loop: Header=BB2_129 Depth=3
	v_mov_b32_e32 v4, 0
	s_mov_b32 s22, exec_lo
	v_cmpx_ne_u32_e32 0, v16
	s_cbranch_execz .LBB2_539
; %bb.532:                              ;   in Loop: Header=BB2_129 Depth=3
	v_bfe_u32 v19, v16, 23, 8
	v_and_b32_e32 v16, 0x7fffff, v16
	s_mov_b32 s23, exec_lo
	s_delay_alu instid0(VALU_DEP_2) | instskip(SKIP_1) | instid1(VALU_DEP_3)
	v_sub_nc_u32_e32 v4, 0x79, v19
	v_cmp_gt_u32_e32 vcc_lo, 0x7a, v19
	v_or_b32_e32 v17, 0x800000, v16
	s_delay_alu instid0(VALU_DEP_3) | instskip(SKIP_1) | instid1(VALU_DEP_2)
	v_cndmask_b32_e32 v4, 0, v4, vcc_lo
	v_cmp_eq_u32_e32 vcc_lo, 0, v19
	v_cndmask_b32_e64 v45, v4, 0x78, vcc_lo
	s_delay_alu instid0(VALU_DEP_4) | instskip(NEXT) | instid1(VALU_DEP_2)
	v_dual_cndmask_b32 v16, v17, v16 :: v_dual_mov_b32 v17, v55
	v_dual_add_nc_u32 v4, 20, v45 :: v_dual_add_nc_u32 v73, 19, v45
	s_delay_alu instid0(VALU_DEP_1) | instskip(NEXT) | instid1(VALU_DEP_2)
	v_lshlrev_b64_e64 v[4:5], v4, -1
	v_lshlrev_b64_e64 v[74:75], v73, 1
	s_delay_alu instid0(VALU_DEP_2) | instskip(NEXT) | instid1(VALU_DEP_3)
	v_bfi_b32 v77, v5, 0, 0
	v_bfi_b32 v76, v4, 0, v16
	v_lshrrev_b64 v[4:5], v45, v[16:17]
	s_delay_alu instid0(VALU_DEP_1) | instskip(NEXT) | instid1(VALU_DEP_3)
	v_mov_b64_e32 v[16:17], v[4:5]
	v_cmpx_eq_u64_e64 v[76:77], v[74:75]
; %bb.533:                              ;   in Loop: Header=BB2_129 Depth=3
	v_bfe_u32 v16, v4, 20, 1
	v_mov_b32_e32 v17, v55
	s_delay_alu instid0(VALU_DEP_1) | instskip(NEXT) | instid1(VALU_DEP_1)
	v_add_nc_u64_e32 v[16:17], v[4:5], v[16:17]
	v_add_nc_u64_e32 v[16:17], -1, v[16:17]
; %bb.534:                              ;   in Loop: Header=BB2_129 Depth=3
	s_or_b32 exec_lo, exec_lo, s23
	v_add_nc_u32_e32 v5, 0xffffff81, v19
	v_lshrrev_b32_e32 v17, 23, v4
	s_mov_b32 s9, exec_lo
	s_delay_alu instid0(VALU_DEP_2) | instskip(NEXT) | instid1(VALU_DEP_1)
	v_cndmask_b32_e64 v5, v5, 0xffffff82, vcc_lo
	v_add3_u32 v17, v45, v5, v17
	v_and_b32_e32 v5, 0xfffff, v16
                                        ; implicit-def: $vgpr16
	s_delay_alu instid0(VALU_DEP_1) | instskip(SKIP_1) | instid1(VALU_DEP_2)
	v_dual_add_nc_u32 v19, 6, v17 :: v_dual_add_nc_u32 v4, v5, v4
	v_mov_b32_e32 v5, v55
	v_cmpx_ne_u32_e32 0, v19
	s_xor_b32 s9, exec_lo, s9
; %bb.535:                              ;   in Loop: Header=BB2_129 Depth=3
	s_delay_alu instid0(VALU_DEP_2) | instskip(SKIP_2) | instid1(VALU_DEP_2)
	v_cmp_lt_u64_e32 vcc_lo, 0xffffff, v[4:5]
	v_add_nc_u32_e32 v16, 7, v17
	v_cndmask_b32_e64 v17, 0, 1, vcc_lo
	v_cndmask_b32_e32 v16, v19, v16, vcc_lo
	s_delay_alu instid0(VALU_DEP_2)
	v_lshrrev_b64 v[4:5], v17, v[4:5]
; %bb.536:                              ;   in Loop: Header=BB2_129 Depth=3
	s_and_not1_saveexec_b32 s9, s9
; %bb.537:                              ;   in Loop: Header=BB2_129 Depth=3
	s_delay_alu instid0(VALU_DEP_1)
	v_bfe_u32 v16, v4, 23, 1
; %bb.538:                              ;   in Loop: Header=BB2_129 Depth=3
	s_or_b32 exec_lo, exec_lo, s9
	s_delay_alu instid0(VALU_DEP_2) | instskip(NEXT) | instid1(VALU_DEP_2)
	v_lshrrev_b64 v[4:5], 20, v[4:5]
	v_cmp_gt_i32_e32 vcc_lo, 16, v16
	v_min_i32_e32 v17, 15, v16
	v_cmp_eq_u32_e64 s9, 0, v16
	s_delay_alu instid0(VALU_DEP_4) | instskip(NEXT) | instid1(VALU_DEP_3)
	v_cndmask_b32_e32 v5, 0, v5, vcc_lo
	v_dual_cndmask_b32 v4, 7, v4 :: v_dual_lshlrev_b32 v17, 3, v17
	s_delay_alu instid0(VALU_DEP_1) | instskip(NEXT) | instid1(VALU_DEP_2)
	v_and_b32_e32 v17, 0xf8, v17
	v_cmp_eq_u64_e32 vcc_lo, 0, v[4:5]
	s_delay_alu instid0(VALU_DEP_2)
	v_and_or_b32 v4, v4, 7, v17
	s_and_b32 s9, s9, vcc_lo
	s_delay_alu instid0(VALU_DEP_1) | instid1(SALU_CYCLE_1)
	v_cndmask_b32_e64 v4, v4, 0, s9
	s_delay_alu instid0(VALU_DEP_1)
	v_or_b32_e32 v4, v4, v18
.LBB2_539:                              ;   in Loop: Header=BB2_129 Depth=3
	s_or_b32 exec_lo, exec_lo, s22
                                        ; implicit-def: $vgpr18
.LBB2_540:                              ;   in Loop: Header=BB2_129 Depth=3
	s_and_not1_saveexec_b32 s9, s21
; %bb.541:                              ;   in Loop: Header=BB2_129 Depth=3
	v_or_b32_e32 v4, 0x7e, v18
; %bb.542:                              ;   in Loop: Header=BB2_129 Depth=3
	s_or_b32 exec_lo, exec_lo, s9
                                        ; implicit-def: $vgpr5
.LBB2_543:                              ;   in Loop: Header=BB2_129 Depth=3
	s_and_not1_saveexec_b32 s9, s20
	s_cbranch_execz .LBB2_128
; %bb.544:                              ;   in Loop: Header=BB2_129 Depth=3
	v_or_b32_e32 v4, 0x7f, v5
	s_branch .LBB2_128
.LBB2_545:                              ;   in Loop: Header=BB2_85 Depth=2
	s_or_b32 exec_lo, exec_lo, s19
	s_delay_alu instid0(SALU_CYCLE_1)
	s_or_b32 exec_lo, exec_lo, s18
	s_and_saveexec_b32 s9, s3
	s_cbranch_execz .LBB2_122
.LBB2_546:                              ;   in Loop: Header=BB2_85 Depth=2
	s_and_saveexec_b32 s18, s4
	s_delay_alu instid0(SALU_CYCLE_1)
	s_xor_b32 s18, exec_lo, s18
	s_cbranch_execz .LBB2_561
; %bb.547:                              ;   in Loop: Header=BB2_85 Depth=2
	s_and_saveexec_b32 s19, s5
	s_cbranch_execz .LBB2_560
; %bb.548:                              ;   in Loop: Header=BB2_85 Depth=2
	s_mov_b32 s21, exec_lo
	s_mov_b32 s20, exec_lo
	v_mbcnt_lo_u32_b32 v2, s21, 0
	global_wb scope:SCOPE_DEV
	s_wait_storecnt 0x0
	s_wait_loadcnt_dscnt 0x0
	global_inv scope:SCOPE_DEV
	v_cmpx_eq_u32_e32 0, v2
	s_cbranch_execz .LBB2_550
; %bb.549:                              ;   in Loop: Header=BB2_85 Depth=2
	s_bcnt1_i32_b32 s21, s21
	s_delay_alu instid0(SALU_CYCLE_1)
	v_dual_mov_b32 v5, v55 :: v_dual_mov_b32 v4, s21
	s_wait_loadcnt 0x0
	ds_add_u64 v0, v[4:5]
	s_trap 2
.LBB2_550:                              ;   in Loop: Header=BB2_85 Depth=2
	s_or_b32 exec_lo, exec_lo, s20
	s_trap 2
	ds_load_b64 v[4:5], v0
	s_wait_dscnt 0x0
	v_add_nc_u64_e32 v[52:53], v[52:53], v[82:83]
	s_mov_b32 s20, exec_lo
	s_delay_alu instid0(VALU_DEP_1)
	v_cmpx_lt_u64_e64 v[4:5], v[52:53]
	s_cbranch_execz .LBB2_559
; %bb.551:                              ;   in Loop: Header=BB2_85 Depth=2
	s_mov_b32 s21, 0
	s_mov_b32 s24, 0
                                        ; implicit-def: $sgpr22
                                        ; implicit-def: $sgpr23
	s_branch .LBB2_553
.LBB2_552:                              ;   in Loop: Header=BB2_553 Depth=3
	s_or_b32 exec_lo, exec_lo, s26
	s_delay_alu instid0(SALU_CYCLE_1) | instskip(NEXT) | instid1(SALU_CYCLE_1)
	s_and_b32 s25, exec_lo, s27
	s_or_b32 s21, s25, s21
	s_and_not1_b32 s22, s22, exec_lo
	s_and_b32 s25, s23, exec_lo
	s_delay_alu instid0(SALU_CYCLE_1)
	s_or_b32 s22, s22, s25
	s_and_not1_b32 exec_lo, exec_lo, s21
	s_cbranch_execz .LBB2_557
.LBB2_553:                              ;   Parent Loop BB2_36 Depth=1
                                        ;     Parent Loop BB2_85 Depth=2
                                        ; =>    This Inner Loop Header: Depth=3
	s_add_co_i32 s24, s24, 1
	s_delay_alu instid0(SALU_CYCLE_1) | instskip(SKIP_1) | instid1(SALU_CYCLE_1)
	s_cmp_lg_u32 s24, 0x2710
	s_cselect_b32 s25, -1, 0
	s_and_b32 vcc_lo, exec_lo, s25
	s_cbranch_vccz .LBB2_555
; %bb.554:                              ;   in Loop: Header=BB2_553 Depth=3
	s_mov_b32 s27, -1
	s_or_b32 s23, s23, exec_lo
	s_and_saveexec_b32 s26, s25
	s_cbranch_execz .LBB2_552
	s_branch .LBB2_556
.LBB2_555:                              ;   in Loop: Header=BB2_553 Depth=3
	s_trap 2
	ds_load_b64 v[4:5], v0
	s_and_not1_b32 s25, s25, exec_lo
	s_mov_b32 s24, 0
	s_wait_loadcnt_dscnt 0x0
	flat_load_b32 v2, v[4:5] scope:SCOPE_SYS
	s_wait_loadcnt_dscnt 0x0
	global_inv scope:SCOPE_SYS
	v_cmp_eq_u32_e32 vcc_lo, 0, v2
	s_and_b32 s26, vcc_lo, exec_lo
	s_delay_alu instid0(SALU_CYCLE_1)
	s_or_b32 s25, s25, s26
	s_mov_b32 s27, -1
	s_or_b32 s23, s23, exec_lo
	s_and_saveexec_b32 s26, s25
	s_cbranch_execz .LBB2_552
.LBB2_556:                              ;   in Loop: Header=BB2_553 Depth=3
	s_sleep 1
	s_trap 2
	ds_load_b64 v[4:5], v0
	s_wait_dscnt 0x0
	s_and_not1_b32 s23, s23, exec_lo
	v_cmp_ge_u64_e32 vcc_lo, v[4:5], v[52:53]
	s_or_not1_b32 s27, vcc_lo, exec_lo
	s_branch .LBB2_552
.LBB2_557:                              ;   in Loop: Header=BB2_85 Depth=2
	s_or_b32 exec_lo, exec_lo, s21
	s_and_saveexec_b32 s21, s22
	s_delay_alu instid0(SALU_CYCLE_1)
	s_xor_b32 s21, exec_lo, s21
	s_cbranch_execz .LBB2_559
; %bb.558:                              ;   in Loop: Header=BB2_85 Depth=2
	ds_store_b32 v0, v1
	s_trap 2
.LBB2_559:                              ;   in Loop: Header=BB2_85 Depth=2
	s_or_b32 exec_lo, exec_lo, s20
	;;#ASMSTART
	s_wakeup
	;;#ASMEND
.LBB2_560:                              ;   in Loop: Header=BB2_85 Depth=2
	s_or_b32 exec_lo, exec_lo, s19
.LBB2_561:                              ;   in Loop: Header=BB2_85 Depth=2
	s_and_not1_saveexec_b32 s18, s18
	s_cbranch_execz .LBB2_563
; %bb.562:                              ;   in Loop: Header=BB2_85 Depth=2
	global_wb scope:SCOPE_DEV
	s_wait_storecnt 0x0
	s_wait_loadcnt_dscnt 0x0
	global_inv scope:SCOPE_DEV
	s_barrier_signal -1
	s_barrier_wait -1
.LBB2_563:                              ;   in Loop: Header=BB2_85 Depth=2
	s_or_b32 exec_lo, exec_lo, s18
	s_delay_alu instid0(SALU_CYCLE_1)
	s_or_b32 exec_lo, exec_lo, s9
	s_and_saveexec_b32 s9, s7
	s_cbranch_execnz .LBB2_123
	s_branch .LBB2_124
.LBB2_564:                              ;   in Loop: Header=BB2_36 Depth=1
	s_delay_alu instid0(VALU_DEP_1)
	v_mov_b64_e32 v[16:17], v[114:115]
	s_and_saveexec_b32 s9, s8
	s_cbranch_execnz .LBB2_567
; %bb.565:                              ;   in Loop: Header=BB2_36 Depth=1
	s_or_b32 exec_lo, exec_lo, s9
	s_and_saveexec_b32 s8, s3
	s_cbranch_execnz .LBB2_1004
.LBB2_566:                              ;   in Loop: Header=BB2_36 Depth=1
	s_or_b32 exec_lo, exec_lo, s8
	s_and_saveexec_b32 s8, s7
	s_cbranch_execz .LBB2_35
	s_branch .LBB2_1022
.LBB2_567:                              ;   in Loop: Header=BB2_36 Depth=1
	flat_load_b32 v4, v[22:23]
	v_add_nc_u64_e32 v[2:3], v[10:11], v[112:113]
	v_dual_mov_b32 v116, v0 :: v_dual_bitop2_b32 v5, 7, v34 bitop3:0x40
	s_mov_b32 s17, 0
	v_add_nc_u32_e32 v42, 1, v34
	s_wait_loadcnt_dscnt 0x0
	s_delay_alu instid0(VALU_DEP_3) | instskip(SKIP_1) | instid1(VALU_DEP_2)
	v_mad_nc_u64_u32 v[2:3], v68, v4, v[2:3]
	v_ashrrev_i32_e32 v18, 31, v4
	v_mad_u32 v3, v69, v4, v3
	v_mul_lo_u32 v4, v5, s14
	s_delay_alu instid0(VALU_DEP_2) | instskip(NEXT) | instid1(VALU_DEP_2)
	v_mad_u32 v3, v68, v18, v3
	v_ashrrev_i32_e32 v5, 31, v4
	v_add_nc_u64_e32 v[18:19], v[8:9], v[112:113]
	s_delay_alu instid0(VALU_DEP_2) | instskip(NEXT) | instid1(VALU_DEP_4)
	v_lshl_add_u64 v[114:115], v[4:5], 4, v[32:33]
	v_add_nc_u64_e32 v[112:113], v[2:3], v[84:85]
	s_branch .LBB2_569
.LBB2_568:                              ;   in Loop: Header=BB2_569 Depth=2
	v_dual_sub_nc_u32 v57, v57, v86 :: v_dual_add_nc_u32 v116, v116, v20
	v_add_nc_u64_e32 v[112:113], v[112:113], v[86:87]
	s_wait_xcnt 0x0
	v_add_nc_u64_e32 v[18:19], v[18:19], v[86:87]
	s_delay_alu instid0(VALU_DEP_3) | instskip(SKIP_1) | instid1(SALU_CYCLE_1)
	v_cmp_gt_i32_e32 vcc_lo, 1, v57
	s_or_b32 s17, vcc_lo, s17
	s_and_not1_b32 exec_lo, exec_lo, s17
	s_cbranch_execz .LBB2_1003
.LBB2_569:                              ;   Parent Loop BB2_36 Depth=1
                                        ; =>  This Loop Header: Depth=2
                                        ;       Child Loop BB2_577 Depth 3
	s_delay_alu instid0(VALU_DEP_1)
	v_dual_mov_b32 v3, v113 :: v_dual_bitop2_b32 v2, -4, v112 bitop3:0x40
	v_min_u32_e32 v4, 8, v57
	v_dual_mov_b32 v44, 0 :: v_dual_bitop2_b32 v5, 3, v112 bitop3:0x40
	v_mov_b32_e32 v45, 0
	global_load_b32 v40, v[2:3], off th:TH_LOAD_NT
	s_mov_b32 s8, exec_lo
	v_add_nc_u32_e32 v54, v5, v4
	s_wait_xcnt 0x0
	s_delay_alu instid0(VALU_DEP_1)
	v_cmpx_lt_u32_e32 4, v54
	s_cbranch_execz .LBB2_571
; %bb.570:                              ;   in Loop: Header=BB2_569 Depth=2
	global_load_b32 v45, v[2:3], off offset:4 th:TH_LOAD_NT
.LBB2_571:                              ;   in Loop: Header=BB2_569 Depth=2
	s_wait_xcnt 0x0
	s_or_b32 exec_lo, exec_lo, s8
	s_delay_alu instid0(SALU_CYCLE_1)
	s_mov_b32 s8, exec_lo
	v_cmpx_lt_u64_e32 8, v[54:55]
	s_cbranch_execz .LBB2_573
; %bb.572:                              ;   in Loop: Header=BB2_569 Depth=2
	global_load_b32 v44, v[2:3], off offset:8 th:TH_LOAD_NT
.LBB2_573:                              ;   in Loop: Header=BB2_569 Depth=2
	s_wait_xcnt 0x0
	s_or_b32 exec_lo, exec_lo, s8
	v_mov_b32_e32 v117, v55
	v_cmp_eq_u32_e32 vcc_lo, 0, v21
	v_mov_b32_e32 v21, 1
	s_delay_alu instid0(VALU_DEP_3)
	v_lshl_add_u64 v[118:119], v[116:117], 4, v[114:115]
	global_load_b128 v[2:5], v[118:119], off th:TH_LOAD_NT
	s_wait_xcnt 0x0
	s_and_saveexec_b32 s18, vcc_lo
	s_cbranch_execz .LBB2_585
; %bb.574:                              ;   in Loop: Header=BB2_569 Depth=2
	s_wait_loadcnt 0x0
	v_cmp_ne_u32_e32 vcc_lo, v42, v3
	v_cmp_ne_u32_e64 s8, v42, v5
	v_mov_b32_e32 v21, 0
	s_or_b32 s8, vcc_lo, s8
	s_delay_alu instid0(SALU_CYCLE_1)
	s_and_saveexec_b32 s19, s8
	s_cbranch_execz .LBB2_584
; %bb.575:                              ;   in Loop: Header=BB2_569 Depth=2
	s_mov_b32 s23, 1
	s_mov_b32 s21, 0
                                        ; implicit-def: $sgpr20
                                        ; implicit-def: $sgpr22
	s_branch .LBB2_577
.LBB2_576:                              ;   in Loop: Header=BB2_577 Depth=3
	s_or_b32 exec_lo, exec_lo, s25
	s_delay_alu instid0(SALU_CYCLE_1) | instskip(NEXT) | instid1(SALU_CYCLE_1)
	s_and_b32 s8, exec_lo, s8
	s_or_b32 s21, s8, s21
	s_and_not1_b32 s8, s20, exec_lo
	s_and_b32 s20, s22, exec_lo
	s_delay_alu instid0(SALU_CYCLE_1)
	s_or_b32 s20, s8, s20
	s_and_not1_b32 exec_lo, exec_lo, s21
	s_cbranch_execz .LBB2_581
.LBB2_577:                              ;   Parent Loop BB2_36 Depth=1
                                        ;     Parent Loop BB2_569 Depth=2
                                        ; =>    This Inner Loop Header: Depth=3
	s_wait_loadcnt 0x0
	global_load_b128 v[2:5], v[118:119], off th:TH_LOAD_NT
	s_add_co_i32 s23, s23, 1
	s_mov_b32 s8, -1
	s_cmp_lg_u32 s23, 0x2710
	s_mov_b32 s24, -1
                                        ; implicit-def: $vgpr54
	s_cbranch_scc0 .LBB2_579
; %bb.578:                              ;   in Loop: Header=BB2_577 Depth=3
	s_or_b32 s22, s22, exec_lo
	s_wait_xcnt 0x0
	s_and_saveexec_b32 s25, s24
	s_cbranch_execz .LBB2_576
	s_branch .LBB2_580
.LBB2_579:                              ;   in Loop: Header=BB2_577 Depth=3
	s_trap 2
	ds_load_b64 v[46:47], v0
	s_mov_b32 s23, 0
	s_wait_storecnt 0x0
	s_wait_loadcnt_dscnt 0x0
	flat_load_b32 v54, v[46:47] scope:SCOPE_SYS
	s_wait_loadcnt_dscnt 0x0
	global_inv scope:SCOPE_SYS
	v_cmp_eq_u32_e32 vcc_lo, 0, v54
	s_or_not1_b32 s24, vcc_lo, exec_lo
	s_or_b32 s22, s22, exec_lo
	s_wait_xcnt 0x0
	s_and_saveexec_b32 s25, s24
	s_cbranch_execz .LBB2_576
.LBB2_580:                              ;   in Loop: Header=BB2_577 Depth=3
	s_wait_loadcnt 0x0
	v_cmp_eq_u32_e32 vcc_lo, v42, v3
	v_cmp_eq_u32_e64 s8, v42, v5
	s_and_not1_b32 s22, s22, exec_lo
	s_and_b32 s8, vcc_lo, s8
	s_delay_alu instid0(SALU_CYCLE_1)
	s_or_not1_b32 s8, s8, exec_lo
	s_branch .LBB2_576
.LBB2_581:                              ;   in Loop: Header=BB2_569 Depth=2
	s_or_b32 exec_lo, exec_lo, s21
	v_mov_b32_e32 v21, 0
	s_and_saveexec_b32 s8, s20
	s_delay_alu instid0(SALU_CYCLE_1)
	s_xor_b32 s8, exec_lo, s8
	s_cbranch_execz .LBB2_583
; %bb.582:                              ;   in Loop: Header=BB2_569 Depth=2
	v_mov_b32_e32 v21, 1
	s_wait_loadcnt 0x0
	s_wait_storecnt 0x0
	ds_store_b32 v0, v54
	s_trap 2
.LBB2_583:                              ;   in Loop: Header=BB2_569 Depth=2
	s_or_b32 exec_lo, exec_lo, s8
.LBB2_584:                              ;   in Loop: Header=BB2_569 Depth=2
	s_delay_alu instid0(SALU_CYCLE_1)
	s_or_b32 exec_lo, exec_lo, s19
.LBB2_585:                              ;   in Loop: Header=BB2_569 Depth=2
	s_delay_alu instid0(SALU_CYCLE_1) | instskip(SKIP_3) | instid1(VALU_DEP_2)
	s_or_b32 exec_lo, exec_lo, s18
	s_wait_loadcnt 0x0
	v_lshlrev_b32_e32 v5, 3, v112
	v_and_b32_e32 v119, 0xff, v2
                                        ; implicit-def: $vgpr118
	v_alignbit_b32 v54, v45, v40, v5
	s_delay_alu instid0(VALU_DEP_2) | instskip(SKIP_1) | instid1(SALU_CYCLE_1)
	v_cmp_ne_u16_e32 vcc_lo, 0, v119
	s_and_saveexec_b32 s8, s6
	s_xor_b32 s18, exec_lo, s8
	s_cbranch_execz .LBB2_599
; %bb.586:                              ;   in Loop: Header=BB2_569 Depth=2
	v_dual_mov_b32 v118, 0 :: v_dual_mov_b32 v117, 0
	s_and_saveexec_b32 s19, vcc_lo
	s_cbranch_execz .LBB2_592
; %bb.587:                              ;   in Loop: Header=BB2_569 Depth=2
	v_bfrev_b32_e32 v117, 1
	s_mov_b32 s20, exec_lo
	v_cmpx_ne_u16_e32 0x80, v119
	s_cbranch_execz .LBB2_591
; %bb.588:                              ;   in Loop: Header=BB2_569 Depth=2
	v_and_b32_e32 v119, 0x7f, v2
	v_mov_b32_e32 v117, 0x7f800001
	s_mov_b32 s21, exec_lo
	s_delay_alu instid0(VALU_DEP_2)
	v_cmpx_ne_u32_e32 0x7f, v119
	s_cbranch_execz .LBB2_590
; %bb.589:                              ;   in Loop: Header=BB2_569 Depth=2
	v_dual_lshrrev_b32 v40, 3, v119 :: v_dual_bitop2_b32 v117, 7, v2 bitop3:0x40
	v_cmp_gt_u32_e64 s8, 8, v119
	s_delay_alu instid0(VALU_DEP_2) | instskip(NEXT) | instid1(VALU_DEP_1)
	v_clz_i32_u32_e32 v117, v117
	v_min_u32_e32 v117, 32, v117
	s_delay_alu instid0(VALU_DEP_1) | instskip(SKIP_1) | instid1(VALU_DEP_2)
	v_subrev_nc_u32_e32 v41, 28, v117
	v_sub_nc_u32_e32 v117, 29, v117
	v_cndmask_b32_e64 v119, 0, v41, s8
	s_delay_alu instid0(VALU_DEP_2) | instskip(NEXT) | instid1(VALU_DEP_2)
	v_cndmask_b32_e64 v117, v40, v117, s8
	v_lshlrev_b64_e32 v[40:41], v119, v[2:3]
	v_lshlrev_b32_e32 v119, 24, v2
	s_delay_alu instid0(VALU_DEP_1) | instskip(NEXT) | instid1(VALU_DEP_3)
	v_and_b32_e32 v119, 0x80000000, v119
	v_lshlrev_b32_e32 v40, 20, v40
	v_lshl_add_u32 v117, v117, 23, 0x3c000000
	s_delay_alu instid0(VALU_DEP_2) | instskip(NEXT) | instid1(VALU_DEP_1)
	v_and_b32_e32 v40, 0x700000, v40
	v_or3_b32 v117, v40, v119, v117
.LBB2_590:                              ;   in Loop: Header=BB2_569 Depth=2
	s_or_b32 exec_lo, exec_lo, s21
.LBB2_591:                              ;   in Loop: Header=BB2_569 Depth=2
	s_delay_alu instid0(SALU_CYCLE_1)
	s_or_b32 exec_lo, exec_lo, s20
.LBB2_592:                              ;   in Loop: Header=BB2_569 Depth=2
	s_delay_alu instid0(SALU_CYCLE_1) | instskip(SKIP_2) | instid1(VALU_DEP_1)
	s_or_b32 exec_lo, exec_lo, s19
	v_and_b32_e32 v119, 0xff, v54
	s_mov_b32 s19, exec_lo
	v_cmpx_ne_u16_e32 0, v119
	s_cbranch_execz .LBB2_598
; %bb.593:                              ;   in Loop: Header=BB2_569 Depth=2
	v_bfrev_b32_e32 v118, 1
	s_mov_b32 s20, exec_lo
	v_cmpx_ne_u16_e32 0x80, v119
	s_cbranch_execz .LBB2_597
; %bb.594:                              ;   in Loop: Header=BB2_569 Depth=2
	v_and_b32_e32 v119, 0x7f, v54
	v_mov_b32_e32 v118, 0x7f800001
	s_mov_b32 s21, exec_lo
	s_delay_alu instid0(VALU_DEP_2)
	v_cmpx_ne_u32_e32 0x7f, v119
	s_cbranch_execz .LBB2_596
; %bb.595:                              ;   in Loop: Header=BB2_569 Depth=2
	v_dual_lshrrev_b32 v40, 3, v119 :: v_dual_bitop2_b32 v118, 7, v54 bitop3:0x40
	v_cmp_gt_u32_e64 s8, 8, v119
	s_delay_alu instid0(VALU_DEP_2) | instskip(NEXT) | instid1(VALU_DEP_1)
	v_clz_i32_u32_e32 v118, v118
	v_min_u32_e32 v118, 32, v118
	s_delay_alu instid0(VALU_DEP_1) | instskip(SKIP_1) | instid1(VALU_DEP_1)
	v_subrev_nc_u32_e32 v41, 28, v118
	v_sub_nc_u32_e32 v118, 29, v118
	v_dual_cndmask_b32 v40, v40, v118, s8 :: v_dual_cndmask_b32 v118, 0, v41, s8
	s_delay_alu instid0(VALU_DEP_1) | instskip(NEXT) | instid1(VALU_DEP_2)
	v_lshl_add_u32 v40, v40, 23, 0x3c000000
	v_lshlrev_b64_e32 v[118:119], v118, v[54:55]
	v_lshlrev_b32_e32 v119, 24, v54
	s_delay_alu instid0(VALU_DEP_1) | instskip(NEXT) | instid1(VALU_DEP_3)
	v_and_b32_e32 v119, 0x80000000, v119
	v_lshlrev_b32_e32 v118, 20, v118
	s_delay_alu instid0(VALU_DEP_1) | instskip(NEXT) | instid1(VALU_DEP_1)
	v_and_b32_e32 v118, 0x700000, v118
	v_or3_b32 v118, v118, v119, v40
.LBB2_596:                              ;   in Loop: Header=BB2_569 Depth=2
	s_or_b32 exec_lo, exec_lo, s21
.LBB2_597:                              ;   in Loop: Header=BB2_569 Depth=2
	s_delay_alu instid0(SALU_CYCLE_1)
	s_or_b32 exec_lo, exec_lo, s20
.LBB2_598:                              ;   in Loop: Header=BB2_569 Depth=2
	s_delay_alu instid0(SALU_CYCLE_1) | instskip(NEXT) | instid1(VALU_DEP_1)
	s_or_b32 exec_lo, exec_lo, s19
	v_dual_max_num_f32 v118, v118, v118 :: v_dual_max_num_f32 v117, v117, v117
                                        ; implicit-def: $vgpr119
	s_delay_alu instid0(VALU_DEP_1)
	v_max_num_f32_e32 v118, v117, v118
.LBB2_599:                              ;   in Loop: Header=BB2_569 Depth=2
	s_and_not1_saveexec_b32 s8, s18
	s_cbranch_execz .LBB2_613
; %bb.600:                              ;   in Loop: Header=BB2_569 Depth=2
	v_dual_mov_b32 v118, 0 :: v_dual_mov_b32 v117, 0
	s_and_saveexec_b32 s18, vcc_lo
	s_cbranch_execz .LBB2_606
; %bb.601:                              ;   in Loop: Header=BB2_569 Depth=2
	v_bfrev_b32_e32 v117, 1
	s_mov_b32 s19, exec_lo
	v_cmpx_ne_u16_e32 0x80, v119
	s_cbranch_execz .LBB2_605
; %bb.602:                              ;   in Loop: Header=BB2_569 Depth=2
	v_and_b32_e32 v119, 0x7f, v2
	v_mov_b32_e32 v117, 0x7f800001
	s_mov_b32 s20, exec_lo
	s_delay_alu instid0(VALU_DEP_2)
	v_cmpx_ne_u32_e32 0x7f, v119
	s_cbranch_execz .LBB2_604
; %bb.603:                              ;   in Loop: Header=BB2_569 Depth=2
	v_dual_lshrrev_b32 v40, 3, v119 :: v_dual_bitop2_b32 v117, 7, v2 bitop3:0x40
	v_cmp_gt_u32_e32 vcc_lo, 8, v119
	s_delay_alu instid0(VALU_DEP_2) | instskip(NEXT) | instid1(VALU_DEP_1)
	v_clz_i32_u32_e32 v117, v117
	v_min_u32_e32 v117, 32, v117
	s_delay_alu instid0(VALU_DEP_1) | instskip(SKIP_1) | instid1(VALU_DEP_2)
	v_subrev_nc_u32_e32 v41, 28, v117
	v_sub_nc_u32_e32 v117, 29, v117
	v_cndmask_b32_e32 v119, 0, v41, vcc_lo
	s_delay_alu instid0(VALU_DEP_2) | instskip(NEXT) | instid1(VALU_DEP_2)
	v_cndmask_b32_e32 v117, v40, v117, vcc_lo
	v_lshlrev_b64_e32 v[40:41], v119, v[2:3]
	v_lshlrev_b32_e32 v3, 24, v2
	s_delay_alu instid0(VALU_DEP_1) | instskip(NEXT) | instid1(VALU_DEP_3)
	v_and_b32_e32 v3, 0x80000000, v3
	v_lshlrev_b32_e32 v119, 20, v40
	v_lshl_add_u32 v117, v117, 23, 0x3c000000
	s_delay_alu instid0(VALU_DEP_2) | instskip(NEXT) | instid1(VALU_DEP_1)
	v_and_b32_e32 v119, 0x700000, v119
	v_or3_b32 v117, v119, v3, v117
.LBB2_604:                              ;   in Loop: Header=BB2_569 Depth=2
	s_or_b32 exec_lo, exec_lo, s20
.LBB2_605:                              ;   in Loop: Header=BB2_569 Depth=2
	s_delay_alu instid0(SALU_CYCLE_1)
	s_or_b32 exec_lo, exec_lo, s19
.LBB2_606:                              ;   in Loop: Header=BB2_569 Depth=2
	s_delay_alu instid0(SALU_CYCLE_1) | instskip(SKIP_2) | instid1(VALU_DEP_1)
	s_or_b32 exec_lo, exec_lo, s18
	v_and_b32_e32 v3, 0xff, v54
	s_mov_b32 s18, exec_lo
	v_cmpx_ne_u16_e32 0, v3
	s_cbranch_execz .LBB2_612
; %bb.607:                              ;   in Loop: Header=BB2_569 Depth=2
	v_bfrev_b32_e32 v118, 1
	s_mov_b32 s19, exec_lo
	v_cmpx_ne_u16_e32 0x80, v3
	s_cbranch_execz .LBB2_611
; %bb.608:                              ;   in Loop: Header=BB2_569 Depth=2
	v_and_b32_e32 v3, 0x7f, v54
	v_mov_b32_e32 v118, 0x7f800001
	s_mov_b32 s20, exec_lo
	s_delay_alu instid0(VALU_DEP_2)
	v_cmpx_ne_u32_e32 0x7f, v3
	s_cbranch_execz .LBB2_610
; %bb.609:                              ;   in Loop: Header=BB2_569 Depth=2
	v_dual_lshrrev_b32 v119, 3, v3 :: v_dual_bitop2_b32 v118, 7, v54 bitop3:0x40
	v_cmp_gt_u32_e32 vcc_lo, 8, v3
	s_delay_alu instid0(VALU_DEP_2) | instskip(NEXT) | instid1(VALU_DEP_1)
	v_clz_i32_u32_e32 v118, v118
	v_min_u32_e32 v118, 32, v118
	s_delay_alu instid0(VALU_DEP_1) | instskip(SKIP_1) | instid1(VALU_DEP_1)
	v_subrev_nc_u32_e32 v40, 28, v118
	v_sub_nc_u32_e32 v118, 29, v118
	v_dual_cndmask_b32 v3, v119, v118 :: v_dual_cndmask_b32 v118, 0, v40
	s_delay_alu instid0(VALU_DEP_1) | instskip(NEXT) | instid1(VALU_DEP_2)
	v_lshl_add_u32 v3, v3, 23, 0x3c000000
	v_lshlrev_b64_e32 v[118:119], v118, v[54:55]
	v_lshlrev_b32_e32 v119, 24, v54
	s_delay_alu instid0(VALU_DEP_1) | instskip(NEXT) | instid1(VALU_DEP_3)
	v_and_b32_e32 v119, 0x80000000, v119
	v_lshlrev_b32_e32 v118, 20, v118
	s_delay_alu instid0(VALU_DEP_1) | instskip(NEXT) | instid1(VALU_DEP_1)
	v_and_b32_e32 v118, 0x700000, v118
	v_or3_b32 v118, v118, v119, v3
.LBB2_610:                              ;   in Loop: Header=BB2_569 Depth=2
	s_or_b32 exec_lo, exec_lo, s20
.LBB2_611:                              ;   in Loop: Header=BB2_569 Depth=2
	s_delay_alu instid0(SALU_CYCLE_1)
	s_or_b32 exec_lo, exec_lo, s19
.LBB2_612:                              ;   in Loop: Header=BB2_569 Depth=2
	s_delay_alu instid0(SALU_CYCLE_1) | instskip(NEXT) | instid1(VALU_DEP_1)
	s_or_b32 exec_lo, exec_lo, s18
	v_dual_max_num_f32 v3, v118, v118 :: v_dual_max_num_f32 v117, v117, v117
	s_delay_alu instid0(VALU_DEP_1)
	v_min_num_f32_e32 v118, v117, v3
.LBB2_613:                              ;   in Loop: Header=BB2_569 Depth=2
	s_or_b32 exec_lo, exec_lo, s8
	s_delay_alu instid0(VALU_DEP_1) | instskip(SKIP_2) | instid1(VALU_DEP_1)
	v_and_b32_e32 v40, 0x7f800000, v118
	v_dual_mov_b32 v41, v55 :: v_dual_lshrrev_b32 v3, 24, v118
                                        ; implicit-def: $vgpr117
	s_mov_b32 s8, exec_lo
	v_cmpx_ne_u64_e32 0x7f800000, v[40:41]
	s_xor_b32 s18, exec_lo, s8
	s_cbranch_execz .LBB2_627
; %bb.614:                              ;   in Loop: Header=BB2_569 Depth=2
	v_and_b32_e32 v40, 0x7fffffff, v118
	v_mov_b32_e32 v41, v55
	v_and_b32_e32 v3, 0x80, v3
                                        ; implicit-def: $vgpr117
	s_mov_b32 s8, exec_lo
	s_delay_alu instid0(VALU_DEP_2)
	v_cmpx_gt_u64_e32 0x43e00001, v[40:41]
	s_xor_b32 s19, exec_lo, s8
	s_cbranch_execz .LBB2_624
; %bb.615:                              ;   in Loop: Header=BB2_569 Depth=2
	v_mov_b32_e32 v117, 0
	s_mov_b32 s20, exec_lo
	v_cmpx_ne_u32_e32 0, v118
	s_cbranch_execz .LBB2_623
; %bb.616:                              ;   in Loop: Header=BB2_569 Depth=2
	v_bfe_u32 v117, v118, 23, 8
	v_and_b32_e32 v40, 0x7fffff, v118
	s_mov_b32 s21, exec_lo
	s_delay_alu instid0(VALU_DEP_2) | instskip(NEXT) | instid1(VALU_DEP_2)
	v_cmp_gt_u32_e32 vcc_lo, 0x7a, v117
	v_or_b32_e32 v41, 0x800000, v40
	v_sub_nc_u32_e32 v119, 0x79, v117
	s_delay_alu instid0(VALU_DEP_1) | instskip(SKIP_1) | instid1(VALU_DEP_4)
	v_cndmask_b32_e32 v119, 0, v119, vcc_lo
	v_cmp_eq_u32_e32 vcc_lo, 0, v117
	v_dual_cndmask_b32 v40, v41, v40 :: v_dual_mov_b32 v41, v55
	s_delay_alu instid0(VALU_DEP_3) | instskip(NEXT) | instid1(VALU_DEP_1)
	v_cndmask_b32_e64 v43, v119, 0x78, vcc_lo
	v_dual_add_nc_u32 v118, 20, v43 :: v_dual_add_nc_u32 v46, 19, v43
	s_delay_alu instid0(VALU_DEP_1) | instskip(NEXT) | instid1(VALU_DEP_2)
	v_lshlrev_b64_e64 v[118:119], v118, -1
	v_lshlrev_b64_e64 v[46:47], v46, 1
	s_delay_alu instid0(VALU_DEP_2) | instskip(NEXT) | instid1(VALU_DEP_3)
	v_bfi_b32 v59, v119, 0, 0
	v_bfi_b32 v58, v118, 0, v40
	v_lshrrev_b64 v[118:119], v43, v[40:41]
	s_delay_alu instid0(VALU_DEP_1) | instskip(NEXT) | instid1(VALU_DEP_3)
	v_mov_b64_e32 v[40:41], v[118:119]
	v_cmpx_eq_u64_e64 v[58:59], v[46:47]
; %bb.617:                              ;   in Loop: Header=BB2_569 Depth=2
	v_bfe_u32 v40, v118, 20, 1
	v_mov_b32_e32 v41, v55
	s_delay_alu instid0(VALU_DEP_1) | instskip(NEXT) | instid1(VALU_DEP_1)
	v_add_nc_u64_e32 v[40:41], v[118:119], v[40:41]
	v_add_nc_u64_e32 v[40:41], -1, v[40:41]
; %bb.618:                              ;   in Loop: Header=BB2_569 Depth=2
	s_or_b32 exec_lo, exec_lo, s21
	v_add_nc_u32_e32 v117, 0xffffff81, v117
	v_lshrrev_b32_e32 v119, 23, v118
	s_mov_b32 s8, exec_lo
	s_delay_alu instid0(VALU_DEP_2) | instskip(NEXT) | instid1(VALU_DEP_1)
	v_cndmask_b32_e64 v117, v117, 0xffffff82, vcc_lo
	v_add3_u32 v41, v43, v117, v119
	v_and_b32_e32 v117, 0xfffff, v40
	s_delay_alu instid0(VALU_DEP_2) | instskip(NEXT) | instid1(VALU_DEP_2)
	v_dual_mov_b32 v119, v55 :: v_dual_add_nc_u32 v40, 6, v41
	v_add_nc_u32_e32 v118, v117, v118
                                        ; implicit-def: $vgpr117
	s_delay_alu instid0(VALU_DEP_2)
	v_cmpx_ne_u32_e32 0, v40
	s_xor_b32 s8, exec_lo, s8
; %bb.619:                              ;   in Loop: Header=BB2_569 Depth=2
	s_delay_alu instid0(VALU_DEP_2) | instskip(SKIP_1) | instid1(VALU_DEP_1)
	v_cmp_lt_u64_e32 vcc_lo, 0xffffff, v[118:119]
	v_add_nc_u32_e32 v117, 7, v41
	v_cndmask_b32_e32 v117, v40, v117, vcc_lo
	v_cndmask_b32_e64 v40, 0, 1, vcc_lo
	s_delay_alu instid0(VALU_DEP_1)
	v_lshrrev_b64 v[118:119], v40, v[118:119]
; %bb.620:                              ;   in Loop: Header=BB2_569 Depth=2
	s_and_not1_saveexec_b32 s8, s8
; %bb.621:                              ;   in Loop: Header=BB2_569 Depth=2
	s_delay_alu instid0(VALU_DEP_1)
	v_bfe_u32 v117, v118, 23, 1
; %bb.622:                              ;   in Loop: Header=BB2_569 Depth=2
	s_or_b32 exec_lo, exec_lo, s8
	s_delay_alu instid0(VALU_DEP_2) | instskip(NEXT) | instid1(VALU_DEP_2)
	v_lshrrev_b64 v[118:119], 20, v[118:119]
	v_cmp_gt_i32_e32 vcc_lo, 16, v117
	v_min_i32_e32 v40, 15, v117
	v_cmp_eq_u32_e64 s8, 0, v117
	s_delay_alu instid0(VALU_DEP_2) | instskip(SKIP_1) | instid1(VALU_DEP_2)
	v_dual_cndmask_b32 v119, 0, v119 :: v_dual_lshlrev_b32 v40, 3, v40
	v_cndmask_b32_e32 v118, 7, v118, vcc_lo
	v_and_b32_e32 v40, 0xf8, v40
	s_delay_alu instid0(VALU_DEP_2) | instskip(NEXT) | instid1(VALU_DEP_2)
	v_cmp_eq_u64_e32 vcc_lo, 0, v[118:119]
	v_and_or_b32 v117, v118, 7, v40
	s_and_b32 s8, s8, vcc_lo
	s_delay_alu instid0(VALU_DEP_1) | instid1(SALU_CYCLE_1)
	v_cndmask_b32_e64 v117, v117, 0, s8
	s_delay_alu instid0(VALU_DEP_1)
	v_or_b32_e32 v117, v117, v3
.LBB2_623:                              ;   in Loop: Header=BB2_569 Depth=2
	s_or_b32 exec_lo, exec_lo, s20
                                        ; implicit-def: $vgpr3
.LBB2_624:                              ;   in Loop: Header=BB2_569 Depth=2
	s_and_not1_saveexec_b32 s8, s19
; %bb.625:                              ;   in Loop: Header=BB2_569 Depth=2
	v_or_b32_e32 v117, 0x7e, v3
; %bb.626:                              ;   in Loop: Header=BB2_569 Depth=2
	s_or_b32 exec_lo, exec_lo, s8
                                        ; implicit-def: $vgpr3
.LBB2_627:                              ;   in Loop: Header=BB2_569 Depth=2
	s_and_not1_saveexec_b32 s8, s18
; %bb.628:                              ;   in Loop: Header=BB2_569 Depth=2
	v_or_b32_e32 v117, 0x7f, v3
; %bb.629:                              ;   in Loop: Header=BB2_569 Depth=2
	s_or_b32 exec_lo, exec_lo, s8
	v_lshrrev_b16 v119, 8, v2
	v_lshrrev_b16 v3, 8, v54
                                        ; implicit-def: $vgpr118
	s_delay_alu instid0(VALU_DEP_2) | instskip(SKIP_1) | instid1(SALU_CYCLE_1)
	v_cmp_ne_u16_e32 vcc_lo, 0, v119
	s_and_saveexec_b32 s8, s6
	s_xor_b32 s18, exec_lo, s8
	s_cbranch_execz .LBB2_647
; %bb.630:                              ;   in Loop: Header=BB2_569 Depth=2
	v_dual_mov_b32 v41, 0 :: v_dual_mov_b32 v40, 0
	s_and_saveexec_b32 s19, vcc_lo
	s_cbranch_execz .LBB2_638
; %bb.631:                              ;   in Loop: Header=BB2_569 Depth=2
	v_bfrev_b32_e32 v40, 1
	s_mov_b32 s20, exec_lo
	v_cmpx_ne_u16_e32 0x80, v119
	s_cbranch_execz .LBB2_637
; %bb.632:                              ;   in Loop: Header=BB2_569 Depth=2
	v_and_b32_e32 v118, 0xffff, v119
	v_mov_b32_e32 v40, 0x7f800001
	s_mov_b32 s21, exec_lo
	s_delay_alu instid0(VALU_DEP_2) | instskip(NEXT) | instid1(VALU_DEP_1)
	v_and_b32_e32 v43, 0x7f, v118
	v_cmpx_ne_u32_e32 0x7f, v43
	s_cbranch_execz .LBB2_636
; %bb.633:                              ;   in Loop: Header=BB2_569 Depth=2
	v_dual_mov_b32 v119, v55 :: v_dual_bitop2_b32 v118, 7, v118 bitop3:0x40
	v_lshrrev_b32_e32 v40, 3, v43
	s_mov_b32 s22, exec_lo
	v_cmpx_gt_u32_e32 8, v43
; %bb.634:                              ;   in Loop: Header=BB2_569 Depth=2
	s_delay_alu instid0(VALU_DEP_3) | instskip(NEXT) | instid1(VALU_DEP_1)
	v_clz_i32_u32_e32 v40, v118
	v_min_u32_e32 v40, 32, v40
	s_delay_alu instid0(VALU_DEP_1) | instskip(NEXT) | instid1(VALU_DEP_1)
	v_subrev_nc_u32_e32 v43, 28, v40
	v_lshlrev_b64_e32 v[118:119], v43, v[118:119]
	s_delay_alu instid0(VALU_DEP_1)
	v_dual_sub_nc_u32 v40, 29, v40 :: v_dual_bitop2_b32 v118, 7, v118 bitop3:0x40
; %bb.635:                              ;   in Loop: Header=BB2_569 Depth=2
	s_or_b32 exec_lo, exec_lo, s22
	v_lshlrev_b32_e32 v119, 16, v2
	s_delay_alu instid0(VALU_DEP_2) | instskip(NEXT) | instid1(VALU_DEP_3)
	v_lshlrev_b32_e32 v118, 20, v118
	v_lshl_add_u32 v40, v40, 23, 0x3c000000
	s_delay_alu instid0(VALU_DEP_3) | instskip(NEXT) | instid1(VALU_DEP_1)
	v_and_b32_e32 v119, 0x80000000, v119
	v_or3_b32 v40, v118, v119, v40
.LBB2_636:                              ;   in Loop: Header=BB2_569 Depth=2
	s_or_b32 exec_lo, exec_lo, s21
.LBB2_637:                              ;   in Loop: Header=BB2_569 Depth=2
	s_delay_alu instid0(SALU_CYCLE_1)
	s_or_b32 exec_lo, exec_lo, s20
.LBB2_638:                              ;   in Loop: Header=BB2_569 Depth=2
	s_delay_alu instid0(SALU_CYCLE_1) | instskip(NEXT) | instid1(SALU_CYCLE_1)
	s_or_b32 exec_lo, exec_lo, s19
	s_mov_b32 s19, exec_lo
	v_cmpx_ne_u16_e32 0, v3
	s_cbranch_execz .LBB2_646
; %bb.639:                              ;   in Loop: Header=BB2_569 Depth=2
	v_bfrev_b32_e32 v41, 1
	s_mov_b32 s20, exec_lo
	v_cmpx_ne_u16_e32 0x80, v3
	s_cbranch_execz .LBB2_645
; %bb.640:                              ;   in Loop: Header=BB2_569 Depth=2
	v_and_b32_e32 v3, 0xffff, v3
	v_mov_b32_e32 v41, 0x7f800001
	s_mov_b32 s21, exec_lo
	s_delay_alu instid0(VALU_DEP_2) | instskip(NEXT) | instid1(VALU_DEP_1)
	v_and_b32_e32 v43, 0x7f, v3
	v_cmpx_ne_u32_e32 0x7f, v43
	s_cbranch_execz .LBB2_644
; %bb.641:                              ;   in Loop: Header=BB2_569 Depth=2
	v_dual_mov_b32 v119, v55 :: v_dual_bitop2_b32 v118, 7, v3 bitop3:0x40
	v_lshrrev_b32_e32 v3, 3, v43
	s_mov_b32 s22, exec_lo
	v_cmpx_gt_u32_e32 8, v43
; %bb.642:                              ;   in Loop: Header=BB2_569 Depth=2
	s_delay_alu instid0(VALU_DEP_3) | instskip(NEXT) | instid1(VALU_DEP_1)
	v_clz_i32_u32_e32 v3, v118
	v_min_u32_e32 v3, 32, v3
	s_delay_alu instid0(VALU_DEP_1) | instskip(NEXT) | instid1(VALU_DEP_1)
	v_subrev_nc_u32_e32 v41, 28, v3
	v_lshlrev_b64_e32 v[118:119], v41, v[118:119]
	s_delay_alu instid0(VALU_DEP_1)
	v_dual_sub_nc_u32 v3, 29, v3 :: v_dual_bitop2_b32 v118, 7, v118 bitop3:0x40
; %bb.643:                              ;   in Loop: Header=BB2_569 Depth=2
	s_or_b32 exec_lo, exec_lo, s22
	v_lshlrev_b32_e32 v119, 16, v54
	s_delay_alu instid0(VALU_DEP_2) | instskip(NEXT) | instid1(VALU_DEP_3)
	v_lshlrev_b32_e32 v118, 20, v118
	v_lshl_add_u32 v3, v3, 23, 0x3c000000
	s_delay_alu instid0(VALU_DEP_3) | instskip(NEXT) | instid1(VALU_DEP_1)
	v_and_b32_e32 v119, 0x80000000, v119
	v_or3_b32 v41, v118, v119, v3
.LBB2_644:                              ;   in Loop: Header=BB2_569 Depth=2
	s_or_b32 exec_lo, exec_lo, s21
.LBB2_645:                              ;   in Loop: Header=BB2_569 Depth=2
	s_delay_alu instid0(SALU_CYCLE_1)
	s_or_b32 exec_lo, exec_lo, s20
.LBB2_646:                              ;   in Loop: Header=BB2_569 Depth=2
	s_delay_alu instid0(SALU_CYCLE_1) | instskip(NEXT) | instid1(VALU_DEP_1)
	s_or_b32 exec_lo, exec_lo, s19
	v_dual_max_num_f32 v3, v41, v41 :: v_dual_max_num_f32 v118, v40, v40
                                        ; implicit-def: $vgpr119
	s_delay_alu instid0(VALU_DEP_1)
	v_max_num_f32_e32 v118, v118, v3
                                        ; implicit-def: $vgpr3
.LBB2_647:                              ;   in Loop: Header=BB2_569 Depth=2
	s_and_not1_saveexec_b32 s8, s18
	s_cbranch_execz .LBB2_665
; %bb.648:                              ;   in Loop: Header=BB2_569 Depth=2
	v_dual_mov_b32 v41, 0 :: v_dual_mov_b32 v40, 0
	s_and_saveexec_b32 s18, vcc_lo
	s_cbranch_execz .LBB2_656
; %bb.649:                              ;   in Loop: Header=BB2_569 Depth=2
	v_bfrev_b32_e32 v40, 1
	s_mov_b32 s19, exec_lo
	v_cmpx_ne_u16_e32 0x80, v119
	s_cbranch_execz .LBB2_655
; %bb.650:                              ;   in Loop: Header=BB2_569 Depth=2
	v_and_b32_e32 v118, 0xffff, v119
	v_mov_b32_e32 v40, 0x7f800001
	s_mov_b32 s20, exec_lo
	s_delay_alu instid0(VALU_DEP_2) | instskip(NEXT) | instid1(VALU_DEP_1)
	v_and_b32_e32 v43, 0x7f, v118
	v_cmpx_ne_u32_e32 0x7f, v43
	s_cbranch_execz .LBB2_654
; %bb.651:                              ;   in Loop: Header=BB2_569 Depth=2
	v_dual_mov_b32 v119, v55 :: v_dual_bitop2_b32 v118, 7, v118 bitop3:0x40
	v_lshrrev_b32_e32 v40, 3, v43
	s_mov_b32 s21, exec_lo
	v_cmpx_gt_u32_e32 8, v43
; %bb.652:                              ;   in Loop: Header=BB2_569 Depth=2
	s_delay_alu instid0(VALU_DEP_3) | instskip(NEXT) | instid1(VALU_DEP_1)
	v_clz_i32_u32_e32 v40, v118
	v_min_u32_e32 v40, 32, v40
	s_delay_alu instid0(VALU_DEP_1) | instskip(NEXT) | instid1(VALU_DEP_1)
	v_subrev_nc_u32_e32 v43, 28, v40
	v_lshlrev_b64_e32 v[118:119], v43, v[118:119]
	s_delay_alu instid0(VALU_DEP_1)
	v_dual_sub_nc_u32 v40, 29, v40 :: v_dual_bitop2_b32 v118, 7, v118 bitop3:0x40
; %bb.653:                              ;   in Loop: Header=BB2_569 Depth=2
	s_or_b32 exec_lo, exec_lo, s21
	v_lshlrev_b32_e32 v119, 16, v2
	s_delay_alu instid0(VALU_DEP_2) | instskip(NEXT) | instid1(VALU_DEP_3)
	v_lshlrev_b32_e32 v118, 20, v118
	v_lshl_add_u32 v40, v40, 23, 0x3c000000
	s_delay_alu instid0(VALU_DEP_3) | instskip(NEXT) | instid1(VALU_DEP_1)
	v_and_b32_e32 v119, 0x80000000, v119
	v_or3_b32 v40, v118, v119, v40
.LBB2_654:                              ;   in Loop: Header=BB2_569 Depth=2
	s_or_b32 exec_lo, exec_lo, s20
.LBB2_655:                              ;   in Loop: Header=BB2_569 Depth=2
	s_delay_alu instid0(SALU_CYCLE_1)
	s_or_b32 exec_lo, exec_lo, s19
.LBB2_656:                              ;   in Loop: Header=BB2_569 Depth=2
	s_delay_alu instid0(SALU_CYCLE_1) | instskip(NEXT) | instid1(SALU_CYCLE_1)
	s_or_b32 exec_lo, exec_lo, s18
	s_mov_b32 s18, exec_lo
	v_cmpx_ne_u16_e32 0, v3
	s_cbranch_execz .LBB2_664
; %bb.657:                              ;   in Loop: Header=BB2_569 Depth=2
	v_bfrev_b32_e32 v41, 1
	s_mov_b32 s19, exec_lo
	v_cmpx_ne_u16_e32 0x80, v3
	s_cbranch_execz .LBB2_663
; %bb.658:                              ;   in Loop: Header=BB2_569 Depth=2
	v_and_b32_e32 v3, 0xffff, v3
	v_mov_b32_e32 v41, 0x7f800001
	s_mov_b32 s20, exec_lo
	s_delay_alu instid0(VALU_DEP_2) | instskip(NEXT) | instid1(VALU_DEP_1)
	v_and_b32_e32 v43, 0x7f, v3
	v_cmpx_ne_u32_e32 0x7f, v43
	s_cbranch_execz .LBB2_662
; %bb.659:                              ;   in Loop: Header=BB2_569 Depth=2
	v_dual_mov_b32 v119, v55 :: v_dual_bitop2_b32 v118, 7, v3 bitop3:0x40
	v_lshrrev_b32_e32 v3, 3, v43
	s_mov_b32 s21, exec_lo
	v_cmpx_gt_u32_e32 8, v43
; %bb.660:                              ;   in Loop: Header=BB2_569 Depth=2
	s_delay_alu instid0(VALU_DEP_3) | instskip(NEXT) | instid1(VALU_DEP_1)
	v_clz_i32_u32_e32 v3, v118
	v_min_u32_e32 v3, 32, v3
	s_delay_alu instid0(VALU_DEP_1) | instskip(NEXT) | instid1(VALU_DEP_1)
	v_subrev_nc_u32_e32 v41, 28, v3
	v_lshlrev_b64_e32 v[118:119], v41, v[118:119]
	s_delay_alu instid0(VALU_DEP_1)
	v_dual_sub_nc_u32 v3, 29, v3 :: v_dual_bitop2_b32 v118, 7, v118 bitop3:0x40
; %bb.661:                              ;   in Loop: Header=BB2_569 Depth=2
	s_or_b32 exec_lo, exec_lo, s21
	v_lshlrev_b32_e32 v119, 16, v54
	s_delay_alu instid0(VALU_DEP_2) | instskip(NEXT) | instid1(VALU_DEP_3)
	v_lshlrev_b32_e32 v118, 20, v118
	v_lshl_add_u32 v3, v3, 23, 0x3c000000
	s_delay_alu instid0(VALU_DEP_3) | instskip(NEXT) | instid1(VALU_DEP_1)
	v_and_b32_e32 v119, 0x80000000, v119
	v_or3_b32 v41, v118, v119, v3
.LBB2_662:                              ;   in Loop: Header=BB2_569 Depth=2
	s_or_b32 exec_lo, exec_lo, s20
.LBB2_663:                              ;   in Loop: Header=BB2_569 Depth=2
	s_delay_alu instid0(SALU_CYCLE_1)
	s_or_b32 exec_lo, exec_lo, s19
.LBB2_664:                              ;   in Loop: Header=BB2_569 Depth=2
	s_delay_alu instid0(SALU_CYCLE_1) | instskip(NEXT) | instid1(VALU_DEP_1)
	s_or_b32 exec_lo, exec_lo, s18
	v_dual_max_num_f32 v3, v41, v41 :: v_dual_max_num_f32 v118, v40, v40
	s_delay_alu instid0(VALU_DEP_1)
	v_min_num_f32_e32 v118, v118, v3
.LBB2_665:                              ;   in Loop: Header=BB2_569 Depth=2
	s_or_b32 exec_lo, exec_lo, s8
	s_delay_alu instid0(VALU_DEP_1) | instskip(SKIP_2) | instid1(VALU_DEP_1)
	v_and_b32_e32 v40, 0x7f800000, v118
	v_dual_mov_b32 v41, v55 :: v_dual_lshrrev_b32 v3, 24, v118
                                        ; implicit-def: $vgpr43
	s_mov_b32 s8, exec_lo
	v_cmpx_ne_u64_e32 0x7f800000, v[40:41]
	s_xor_b32 s18, exec_lo, s8
	s_cbranch_execz .LBB2_679
; %bb.666:                              ;   in Loop: Header=BB2_569 Depth=2
	v_and_b32_e32 v40, 0x7fffffff, v118
	v_mov_b32_e32 v41, v55
	v_and_b32_e32 v3, 0x80, v3
                                        ; implicit-def: $vgpr43
	s_mov_b32 s8, exec_lo
	s_delay_alu instid0(VALU_DEP_2)
	v_cmpx_gt_u64_e32 0x43e00001, v[40:41]
	s_xor_b32 s19, exec_lo, s8
	s_cbranch_execz .LBB2_676
; %bb.667:                              ;   in Loop: Header=BB2_569 Depth=2
	v_mov_b32_e32 v43, 0
	s_mov_b32 s20, exec_lo
	v_cmpx_ne_u32_e32 0, v118
	s_cbranch_execz .LBB2_675
; %bb.668:                              ;   in Loop: Header=BB2_569 Depth=2
	v_bfe_u32 v43, v118, 23, 8
	v_and_b32_e32 v40, 0x7fffff, v118
	s_mov_b32 s21, exec_lo
	s_delay_alu instid0(VALU_DEP_2) | instskip(NEXT) | instid1(VALU_DEP_2)
	v_cmp_gt_u32_e32 vcc_lo, 0x7a, v43
	v_or_b32_e32 v41, 0x800000, v40
	v_sub_nc_u32_e32 v119, 0x79, v43
	s_delay_alu instid0(VALU_DEP_1) | instskip(SKIP_1) | instid1(VALU_DEP_2)
	v_cndmask_b32_e32 v119, 0, v119, vcc_lo
	v_cmp_eq_u32_e32 vcc_lo, 0, v43
	v_cndmask_b32_e64 v46, v119, 0x78, vcc_lo
	v_dual_cndmask_b32 v40, v41, v40 :: v_dual_mov_b32 v41, v55
	s_delay_alu instid0(VALU_DEP_2) | instskip(NEXT) | instid1(VALU_DEP_1)
	v_dual_add_nc_u32 v47, 19, v46 :: v_dual_add_nc_u32 v118, 20, v46
	v_lshlrev_b64_e64 v[58:59], v47, 1
	s_delay_alu instid0(VALU_DEP_2) | instskip(NEXT) | instid1(VALU_DEP_1)
	v_lshlrev_b64_e64 v[118:119], v118, -1
	v_bfi_b32 v61, v119, 0, 0
	s_delay_alu instid0(VALU_DEP_2) | instskip(SKIP_1) | instid1(VALU_DEP_1)
	v_bfi_b32 v60, v118, 0, v40
	v_lshrrev_b64 v[118:119], v46, v[40:41]
	v_mov_b64_e32 v[40:41], v[118:119]
	s_delay_alu instid0(VALU_DEP_3)
	v_cmpx_eq_u64_e64 v[60:61], v[58:59]
; %bb.669:                              ;   in Loop: Header=BB2_569 Depth=2
	v_bfe_u32 v40, v118, 20, 1
	v_mov_b32_e32 v41, v55
	s_delay_alu instid0(VALU_DEP_1) | instskip(NEXT) | instid1(VALU_DEP_1)
	v_add_nc_u64_e32 v[40:41], v[118:119], v[40:41]
	v_add_nc_u64_e32 v[40:41], -1, v[40:41]
; %bb.670:                              ;   in Loop: Header=BB2_569 Depth=2
	s_or_b32 exec_lo, exec_lo, s21
	v_add_nc_u32_e32 v119, 0xffffff81, v43
	v_lshrrev_b32_e32 v41, 23, v118
	s_mov_b32 s8, exec_lo
	s_delay_alu instid0(VALU_DEP_2) | instskip(NEXT) | instid1(VALU_DEP_1)
	v_cndmask_b32_e64 v119, v119, 0xffffff82, vcc_lo
	v_add3_u32 v41, v46, v119, v41
	v_and_b32_e32 v119, 0xfffff, v40
                                        ; implicit-def: $vgpr40
	s_delay_alu instid0(VALU_DEP_1) | instskip(SKIP_1) | instid1(VALU_DEP_2)
	v_dual_add_nc_u32 v43, 6, v41 :: v_dual_add_nc_u32 v118, v119, v118
	v_mov_b32_e32 v119, v55
	v_cmpx_ne_u32_e32 0, v43
	s_xor_b32 s8, exec_lo, s8
; %bb.671:                              ;   in Loop: Header=BB2_569 Depth=2
	s_delay_alu instid0(VALU_DEP_2) | instskip(SKIP_2) | instid1(VALU_DEP_2)
	v_cmp_lt_u64_e32 vcc_lo, 0xffffff, v[118:119]
	v_add_nc_u32_e32 v40, 7, v41
	v_cndmask_b32_e64 v41, 0, 1, vcc_lo
	v_cndmask_b32_e32 v40, v43, v40, vcc_lo
	s_delay_alu instid0(VALU_DEP_2)
	v_lshrrev_b64 v[118:119], v41, v[118:119]
; %bb.672:                              ;   in Loop: Header=BB2_569 Depth=2
	s_and_not1_saveexec_b32 s8, s8
; %bb.673:                              ;   in Loop: Header=BB2_569 Depth=2
	s_delay_alu instid0(VALU_DEP_1)
	v_bfe_u32 v40, v118, 23, 1
; %bb.674:                              ;   in Loop: Header=BB2_569 Depth=2
	s_or_b32 exec_lo, exec_lo, s8
	s_delay_alu instid0(VALU_DEP_2) | instskip(NEXT) | instid1(VALU_DEP_2)
	v_lshrrev_b64 v[118:119], 20, v[118:119]
	v_cmp_gt_i32_e32 vcc_lo, 16, v40
	v_min_i32_e32 v41, 15, v40
	v_cmp_eq_u32_e64 s8, 0, v40
	s_delay_alu instid0(VALU_DEP_2) | instskip(SKIP_1) | instid1(VALU_DEP_2)
	v_dual_cndmask_b32 v119, 0, v119, vcc_lo :: v_dual_lshlrev_b32 v41, 3, v41
	v_cndmask_b32_e32 v118, 7, v118, vcc_lo
	v_and_b32_e32 v41, 0xf8, v41
	s_delay_alu instid0(VALU_DEP_2) | instskip(NEXT) | instid1(VALU_DEP_2)
	v_cmp_eq_u64_e32 vcc_lo, 0, v[118:119]
	v_and_or_b32 v118, v118, 7, v41
	s_and_b32 s8, s8, vcc_lo
	s_delay_alu instid0(VALU_DEP_1) | instid1(SALU_CYCLE_1)
	v_cndmask_b32_e64 v118, v118, 0, s8
	s_delay_alu instid0(VALU_DEP_1)
	v_or_b32_e32 v43, v118, v3
.LBB2_675:                              ;   in Loop: Header=BB2_569 Depth=2
	s_or_b32 exec_lo, exec_lo, s20
                                        ; implicit-def: $vgpr3
.LBB2_676:                              ;   in Loop: Header=BB2_569 Depth=2
	s_and_not1_saveexec_b32 s8, s19
; %bb.677:                              ;   in Loop: Header=BB2_569 Depth=2
	v_or_b32_e32 v43, 0x7e, v3
; %bb.678:                              ;   in Loop: Header=BB2_569 Depth=2
	s_or_b32 exec_lo, exec_lo, s8
                                        ; implicit-def: $vgpr3
.LBB2_679:                              ;   in Loop: Header=BB2_569 Depth=2
	s_and_not1_saveexec_b32 s8, s18
; %bb.680:                              ;   in Loop: Header=BB2_569 Depth=2
	v_or_b32_e32 v43, 0x7f, v3
; %bb.681:                              ;   in Loop: Header=BB2_569 Depth=2
	s_or_b32 exec_lo, exec_lo, s8
	v_lshrrev_b32_e32 v40, 16, v2
	v_lshrrev_b32_e32 v3, 16, v54
                                        ; implicit-def: $vgpr118
	s_delay_alu instid0(VALU_DEP_2) | instskip(NEXT) | instid1(VALU_DEP_1)
	v_and_b32_e32 v119, 0xff, v40
	v_cmp_ne_u16_e32 vcc_lo, 0, v119
	s_and_saveexec_b32 s8, s6
	s_delay_alu instid0(SALU_CYCLE_1)
	s_xor_b32 s18, exec_lo, s8
	s_cbranch_execz .LBB2_699
; %bb.682:                              ;   in Loop: Header=BB2_569 Depth=2
	v_dual_mov_b32 v46, 0 :: v_dual_mov_b32 v41, 0
	s_and_saveexec_b32 s19, vcc_lo
	s_cbranch_execz .LBB2_690
; %bb.683:                              ;   in Loop: Header=BB2_569 Depth=2
	v_bfrev_b32_e32 v41, 1
	s_mov_b32 s20, exec_lo
	v_cmpx_ne_u16_e32 0x80, v119
	s_cbranch_execz .LBB2_689
; %bb.684:                              ;   in Loop: Header=BB2_569 Depth=2
	v_bfe_u32 v47, v2, 16, 7
	v_mov_b32_e32 v41, 0x7f800001
	s_mov_b32 s21, exec_lo
	s_delay_alu instid0(VALU_DEP_2)
	v_cmpx_ne_u32_e32 0x7f, v47
	s_cbranch_execz .LBB2_688
; %bb.685:                              ;   in Loop: Header=BB2_569 Depth=2
	v_dual_mov_b32 v119, v55 :: v_dual_bitop2_b32 v118, 7, v40 bitop3:0x40
	v_lshrrev_b32_e32 v41, 3, v47
	s_mov_b32 s22, exec_lo
	v_cmpx_gt_u32_e32 8, v47
; %bb.686:                              ;   in Loop: Header=BB2_569 Depth=2
	s_delay_alu instid0(VALU_DEP_3) | instskip(NEXT) | instid1(VALU_DEP_1)
	v_clz_i32_u32_e32 v41, v118
	v_min_u32_e32 v41, 32, v41
	s_delay_alu instid0(VALU_DEP_1) | instskip(NEXT) | instid1(VALU_DEP_1)
	v_subrev_nc_u32_e32 v47, 28, v41
	v_lshlrev_b64_e32 v[118:119], v47, v[118:119]
	s_delay_alu instid0(VALU_DEP_1)
	v_dual_sub_nc_u32 v41, 29, v41 :: v_dual_bitop2_b32 v118, 7, v118 bitop3:0x40
; %bb.687:                              ;   in Loop: Header=BB2_569 Depth=2
	s_or_b32 exec_lo, exec_lo, s22
	s_delay_alu instid0(VALU_DEP_1) | instskip(NEXT) | instid1(VALU_DEP_2)
	v_dual_lshlrev_b32 v119, 24, v40 :: v_dual_lshlrev_b32 v118, 20, v118
	v_lshl_add_u32 v40, v41, 23, 0x3c000000
	s_delay_alu instid0(VALU_DEP_2) | instskip(NEXT) | instid1(VALU_DEP_1)
	v_and_b32_e32 v119, 0x80000000, v119
	v_or3_b32 v41, v118, v119, v40
.LBB2_688:                              ;   in Loop: Header=BB2_569 Depth=2
	s_or_b32 exec_lo, exec_lo, s21
.LBB2_689:                              ;   in Loop: Header=BB2_569 Depth=2
	s_delay_alu instid0(SALU_CYCLE_1)
	s_or_b32 exec_lo, exec_lo, s20
.LBB2_690:                              ;   in Loop: Header=BB2_569 Depth=2
	s_delay_alu instid0(SALU_CYCLE_1) | instskip(SKIP_2) | instid1(VALU_DEP_1)
	s_or_b32 exec_lo, exec_lo, s19
	v_and_b32_e32 v118, 0xff, v3
	s_mov_b32 s19, exec_lo
	v_cmpx_ne_u16_e32 0, v118
	s_cbranch_execz .LBB2_698
; %bb.691:                              ;   in Loop: Header=BB2_569 Depth=2
	v_bfrev_b32_e32 v46, 1
	s_mov_b32 s20, exec_lo
	v_cmpx_ne_u16_e32 0x80, v118
	s_cbranch_execz .LBB2_697
; %bb.692:                              ;   in Loop: Header=BB2_569 Depth=2
	v_bfe_u32 v47, v54, 16, 7
	v_mov_b32_e32 v46, 0x7f800001
	s_mov_b32 s21, exec_lo
	s_delay_alu instid0(VALU_DEP_2)
	v_cmpx_ne_u32_e32 0x7f, v47
	s_cbranch_execz .LBB2_696
; %bb.693:                              ;   in Loop: Header=BB2_569 Depth=2
	v_dual_mov_b32 v119, v55 :: v_dual_bitop2_b32 v118, 7, v3 bitop3:0x40
	v_lshrrev_b32_e32 v40, 3, v47
	s_mov_b32 s22, exec_lo
	v_cmpx_gt_u32_e32 8, v47
; %bb.694:                              ;   in Loop: Header=BB2_569 Depth=2
	s_delay_alu instid0(VALU_DEP_3) | instskip(NEXT) | instid1(VALU_DEP_1)
	v_clz_i32_u32_e32 v40, v118
	v_min_u32_e32 v40, 32, v40
	s_delay_alu instid0(VALU_DEP_1) | instskip(NEXT) | instid1(VALU_DEP_1)
	v_subrev_nc_u32_e32 v46, 28, v40
	v_lshlrev_b64_e32 v[118:119], v46, v[118:119]
	s_delay_alu instid0(VALU_DEP_1)
	v_dual_sub_nc_u32 v40, 29, v40 :: v_dual_bitop2_b32 v118, 7, v118 bitop3:0x40
; %bb.695:                              ;   in Loop: Header=BB2_569 Depth=2
	s_or_b32 exec_lo, exec_lo, s22
	s_delay_alu instid0(VALU_DEP_1) | instskip(NEXT) | instid1(VALU_DEP_2)
	v_dual_lshlrev_b32 v3, 24, v3 :: v_dual_lshlrev_b32 v118, 20, v118
	v_lshl_add_u32 v119, v40, 23, 0x3c000000
	s_delay_alu instid0(VALU_DEP_2) | instskip(NEXT) | instid1(VALU_DEP_1)
	v_and_b32_e32 v3, 0x80000000, v3
	v_or3_b32 v46, v118, v3, v119
.LBB2_696:                              ;   in Loop: Header=BB2_569 Depth=2
	s_or_b32 exec_lo, exec_lo, s21
.LBB2_697:                              ;   in Loop: Header=BB2_569 Depth=2
	s_delay_alu instid0(SALU_CYCLE_1)
	s_or_b32 exec_lo, exec_lo, s20
.LBB2_698:                              ;   in Loop: Header=BB2_569 Depth=2
	s_delay_alu instid0(SALU_CYCLE_1) | instskip(NEXT) | instid1(VALU_DEP_1)
	s_or_b32 exec_lo, exec_lo, s19
	v_dual_max_num_f32 v3, v46, v46 :: v_dual_max_num_f32 v118, v41, v41
                                        ; implicit-def: $vgpr119
                                        ; implicit-def: $vgpr40
	s_delay_alu instid0(VALU_DEP_1)
	v_max_num_f32_e32 v118, v118, v3
                                        ; implicit-def: $vgpr3
.LBB2_699:                              ;   in Loop: Header=BB2_569 Depth=2
	s_and_not1_saveexec_b32 s8, s18
	s_cbranch_execz .LBB2_717
; %bb.700:                              ;   in Loop: Header=BB2_569 Depth=2
	v_dual_mov_b32 v46, 0 :: v_dual_mov_b32 v41, 0
	s_and_saveexec_b32 s18, vcc_lo
	s_cbranch_execz .LBB2_708
; %bb.701:                              ;   in Loop: Header=BB2_569 Depth=2
	v_bfrev_b32_e32 v41, 1
	s_mov_b32 s19, exec_lo
	v_cmpx_ne_u16_e32 0x80, v119
	s_cbranch_execz .LBB2_707
; %bb.702:                              ;   in Loop: Header=BB2_569 Depth=2
	v_bfe_u32 v47, v2, 16, 7
	v_mov_b32_e32 v41, 0x7f800001
	s_mov_b32 s20, exec_lo
	s_delay_alu instid0(VALU_DEP_2)
	v_cmpx_ne_u32_e32 0x7f, v47
	s_cbranch_execz .LBB2_706
; %bb.703:                              ;   in Loop: Header=BB2_569 Depth=2
	v_dual_mov_b32 v119, v55 :: v_dual_bitop2_b32 v118, 7, v40 bitop3:0x40
	v_lshrrev_b32_e32 v41, 3, v47
	s_mov_b32 s21, exec_lo
	v_cmpx_gt_u32_e32 8, v47
; %bb.704:                              ;   in Loop: Header=BB2_569 Depth=2
	s_delay_alu instid0(VALU_DEP_3) | instskip(NEXT) | instid1(VALU_DEP_1)
	v_clz_i32_u32_e32 v41, v118
	v_min_u32_e32 v41, 32, v41
	s_delay_alu instid0(VALU_DEP_1) | instskip(NEXT) | instid1(VALU_DEP_1)
	v_subrev_nc_u32_e32 v47, 28, v41
	v_lshlrev_b64_e32 v[118:119], v47, v[118:119]
	s_delay_alu instid0(VALU_DEP_1)
	v_dual_sub_nc_u32 v41, 29, v41 :: v_dual_bitop2_b32 v118, 7, v118 bitop3:0x40
; %bb.705:                              ;   in Loop: Header=BB2_569 Depth=2
	s_or_b32 exec_lo, exec_lo, s21
	s_delay_alu instid0(VALU_DEP_1) | instskip(NEXT) | instid1(VALU_DEP_2)
	v_dual_lshlrev_b32 v119, 24, v40 :: v_dual_lshlrev_b32 v118, 20, v118
	v_lshl_add_u32 v40, v41, 23, 0x3c000000
	s_delay_alu instid0(VALU_DEP_2) | instskip(NEXT) | instid1(VALU_DEP_1)
	v_and_b32_e32 v119, 0x80000000, v119
	v_or3_b32 v41, v118, v119, v40
.LBB2_706:                              ;   in Loop: Header=BB2_569 Depth=2
	s_or_b32 exec_lo, exec_lo, s20
.LBB2_707:                              ;   in Loop: Header=BB2_569 Depth=2
	s_delay_alu instid0(SALU_CYCLE_1)
	s_or_b32 exec_lo, exec_lo, s19
.LBB2_708:                              ;   in Loop: Header=BB2_569 Depth=2
	s_delay_alu instid0(SALU_CYCLE_1) | instskip(SKIP_2) | instid1(VALU_DEP_1)
	s_or_b32 exec_lo, exec_lo, s18
	v_and_b32_e32 v118, 0xff, v3
	s_mov_b32 s18, exec_lo
	v_cmpx_ne_u16_e32 0, v118
	s_cbranch_execz .LBB2_716
; %bb.709:                              ;   in Loop: Header=BB2_569 Depth=2
	v_bfrev_b32_e32 v46, 1
	s_mov_b32 s19, exec_lo
	v_cmpx_ne_u16_e32 0x80, v118
	s_cbranch_execz .LBB2_715
; %bb.710:                              ;   in Loop: Header=BB2_569 Depth=2
	v_bfe_u32 v47, v54, 16, 7
	v_mov_b32_e32 v46, 0x7f800001
	s_mov_b32 s20, exec_lo
	s_delay_alu instid0(VALU_DEP_2)
	v_cmpx_ne_u32_e32 0x7f, v47
	s_cbranch_execz .LBB2_714
; %bb.711:                              ;   in Loop: Header=BB2_569 Depth=2
	v_dual_mov_b32 v119, v55 :: v_dual_bitop2_b32 v118, 7, v3 bitop3:0x40
	v_lshrrev_b32_e32 v40, 3, v47
	s_mov_b32 s21, exec_lo
	v_cmpx_gt_u32_e32 8, v47
; %bb.712:                              ;   in Loop: Header=BB2_569 Depth=2
	s_delay_alu instid0(VALU_DEP_3) | instskip(NEXT) | instid1(VALU_DEP_1)
	v_clz_i32_u32_e32 v40, v118
	v_min_u32_e32 v40, 32, v40
	s_delay_alu instid0(VALU_DEP_1) | instskip(NEXT) | instid1(VALU_DEP_1)
	v_subrev_nc_u32_e32 v46, 28, v40
	v_lshlrev_b64_e32 v[118:119], v46, v[118:119]
	s_delay_alu instid0(VALU_DEP_1)
	v_dual_sub_nc_u32 v40, 29, v40 :: v_dual_bitop2_b32 v118, 7, v118 bitop3:0x40
; %bb.713:                              ;   in Loop: Header=BB2_569 Depth=2
	s_or_b32 exec_lo, exec_lo, s21
	s_delay_alu instid0(VALU_DEP_1) | instskip(NEXT) | instid1(VALU_DEP_2)
	v_dual_lshlrev_b32 v3, 24, v3 :: v_dual_lshlrev_b32 v118, 20, v118
	v_lshl_add_u32 v119, v40, 23, 0x3c000000
	s_delay_alu instid0(VALU_DEP_2) | instskip(NEXT) | instid1(VALU_DEP_1)
	v_and_b32_e32 v3, 0x80000000, v3
	v_or3_b32 v46, v118, v3, v119
.LBB2_714:                              ;   in Loop: Header=BB2_569 Depth=2
	s_or_b32 exec_lo, exec_lo, s20
.LBB2_715:                              ;   in Loop: Header=BB2_569 Depth=2
	s_delay_alu instid0(SALU_CYCLE_1)
	s_or_b32 exec_lo, exec_lo, s19
.LBB2_716:                              ;   in Loop: Header=BB2_569 Depth=2
	s_delay_alu instid0(SALU_CYCLE_1) | instskip(NEXT) | instid1(VALU_DEP_1)
	s_or_b32 exec_lo, exec_lo, s18
	v_dual_max_num_f32 v3, v46, v46 :: v_dual_max_num_f32 v118, v41, v41
	s_delay_alu instid0(VALU_DEP_1)
	v_min_num_f32_e32 v118, v118, v3
.LBB2_717:                              ;   in Loop: Header=BB2_569 Depth=2
	s_or_b32 exec_lo, exec_lo, s8
	s_delay_alu instid0(VALU_DEP_1) | instskip(SKIP_1) | instid1(VALU_DEP_1)
	v_and_b32_e32 v40, 0x7f800000, v118
	v_dual_mov_b32 v41, v55 :: v_dual_lshrrev_b32 v3, 24, v118
	v_cmp_ne_u64_e32 vcc_lo, 0x7f800000, v[40:41]
                                        ; implicit-def: $vgpr40
	s_and_saveexec_b32 s8, vcc_lo
	s_delay_alu instid0(SALU_CYCLE_1)
	s_xor_b32 s18, exec_lo, s8
	s_cbranch_execz .LBB2_731
; %bb.718:                              ;   in Loop: Header=BB2_569 Depth=2
	v_and_b32_e32 v40, 0x7fffffff, v118
	v_mov_b32_e32 v41, v55
	v_and_b32_e32 v3, 0x80, v3
	s_delay_alu instid0(VALU_DEP_2) | instskip(SKIP_1) | instid1(SALU_CYCLE_1)
	v_cmp_gt_u64_e32 vcc_lo, 0x43e00001, v[40:41]
                                        ; implicit-def: $vgpr40
	s_and_saveexec_b32 s8, vcc_lo
	s_xor_b32 s19, exec_lo, s8
	s_cbranch_execz .LBB2_728
; %bb.719:                              ;   in Loop: Header=BB2_569 Depth=2
	v_mov_b32_e32 v40, 0
	s_mov_b32 s20, exec_lo
	v_cmpx_ne_u32_e32 0, v118
	s_cbranch_execz .LBB2_727
; %bb.720:                              ;   in Loop: Header=BB2_569 Depth=2
	v_bfe_u32 v46, v118, 23, 8
	v_and_b32_e32 v40, 0x7fffff, v118
	s_mov_b32 s21, exec_lo
	s_delay_alu instid0(VALU_DEP_2) | instskip(NEXT) | instid1(VALU_DEP_2)
	v_cmp_gt_u32_e32 vcc_lo, 0x7a, v46
	v_or_b32_e32 v41, 0x800000, v40
	v_sub_nc_u32_e32 v119, 0x79, v46
	s_delay_alu instid0(VALU_DEP_1) | instskip(SKIP_1) | instid1(VALU_DEP_4)
	v_cndmask_b32_e32 v119, 0, v119, vcc_lo
	v_cmp_eq_u32_e32 vcc_lo, 0, v46
	v_dual_cndmask_b32 v40, v41, v40 :: v_dual_mov_b32 v41, v55
	s_delay_alu instid0(VALU_DEP_3) | instskip(NEXT) | instid1(VALU_DEP_1)
	v_cndmask_b32_e64 v47, v119, 0x78, vcc_lo
	v_dual_add_nc_u32 v118, 20, v47 :: v_dual_add_nc_u32 v58, 19, v47
	s_delay_alu instid0(VALU_DEP_1) | instskip(NEXT) | instid1(VALU_DEP_2)
	v_lshlrev_b64_e64 v[118:119], v118, -1
	v_lshlrev_b64_e64 v[58:59], v58, 1
	s_delay_alu instid0(VALU_DEP_2) | instskip(NEXT) | instid1(VALU_DEP_3)
	v_bfi_b32 v61, v119, 0, 0
	v_bfi_b32 v60, v118, 0, v40
	v_lshrrev_b64 v[118:119], v47, v[40:41]
	s_delay_alu instid0(VALU_DEP_1) | instskip(NEXT) | instid1(VALU_DEP_3)
	v_mov_b64_e32 v[40:41], v[118:119]
	v_cmpx_eq_u64_e64 v[60:61], v[58:59]
; %bb.721:                              ;   in Loop: Header=BB2_569 Depth=2
	v_bfe_u32 v40, v118, 20, 1
	v_mov_b32_e32 v41, v55
	s_delay_alu instid0(VALU_DEP_1) | instskip(NEXT) | instid1(VALU_DEP_1)
	v_add_nc_u64_e32 v[40:41], v[118:119], v[40:41]
	v_add_nc_u64_e32 v[40:41], -1, v[40:41]
; %bb.722:                              ;   in Loop: Header=BB2_569 Depth=2
	s_or_b32 exec_lo, exec_lo, s21
	v_add_nc_u32_e32 v119, 0xffffff81, v46
	v_lshrrev_b32_e32 v41, 23, v118
	s_mov_b32 s8, exec_lo
	s_delay_alu instid0(VALU_DEP_2) | instskip(NEXT) | instid1(VALU_DEP_1)
	v_cndmask_b32_e64 v119, v119, 0xffffff82, vcc_lo
	v_add3_u32 v41, v47, v119, v41
	v_and_b32_e32 v119, 0xfffff, v40
                                        ; implicit-def: $vgpr40
	s_delay_alu instid0(VALU_DEP_1) | instskip(SKIP_1) | instid1(VALU_DEP_2)
	v_dual_add_nc_u32 v46, 6, v41 :: v_dual_add_nc_u32 v118, v119, v118
	v_mov_b32_e32 v119, v55
	v_cmpx_ne_u32_e32 0, v46
	s_xor_b32 s8, exec_lo, s8
; %bb.723:                              ;   in Loop: Header=BB2_569 Depth=2
	s_delay_alu instid0(VALU_DEP_2) | instskip(SKIP_2) | instid1(VALU_DEP_2)
	v_cmp_lt_u64_e32 vcc_lo, 0xffffff, v[118:119]
	v_add_nc_u32_e32 v40, 7, v41
	v_cndmask_b32_e64 v41, 0, 1, vcc_lo
	v_cndmask_b32_e32 v40, v46, v40, vcc_lo
	s_delay_alu instid0(VALU_DEP_2)
	v_lshrrev_b64 v[118:119], v41, v[118:119]
; %bb.724:                              ;   in Loop: Header=BB2_569 Depth=2
	s_and_not1_saveexec_b32 s8, s8
; %bb.725:                              ;   in Loop: Header=BB2_569 Depth=2
	s_delay_alu instid0(VALU_DEP_1)
	v_bfe_u32 v40, v118, 23, 1
; %bb.726:                              ;   in Loop: Header=BB2_569 Depth=2
	s_or_b32 exec_lo, exec_lo, s8
	s_delay_alu instid0(VALU_DEP_2) | instskip(NEXT) | instid1(VALU_DEP_2)
	v_lshrrev_b64 v[118:119], 20, v[118:119]
	v_cmp_gt_i32_e32 vcc_lo, 16, v40
	v_min_i32_e32 v41, 15, v40
	v_cmp_eq_u32_e64 s8, 0, v40
	s_delay_alu instid0(VALU_DEP_2) | instskip(SKIP_1) | instid1(VALU_DEP_2)
	v_dual_cndmask_b32 v119, 0, v119, vcc_lo :: v_dual_lshlrev_b32 v41, 3, v41
	v_cndmask_b32_e32 v118, 7, v118, vcc_lo
	v_and_b32_e32 v41, 0xf8, v41
	s_delay_alu instid0(VALU_DEP_2) | instskip(NEXT) | instid1(VALU_DEP_2)
	v_cmp_eq_u64_e32 vcc_lo, 0, v[118:119]
	v_and_or_b32 v118, v118, 7, v41
	s_and_b32 s8, s8, vcc_lo
	s_delay_alu instid0(VALU_DEP_1) | instid1(SALU_CYCLE_1)
	v_cndmask_b32_e64 v118, v118, 0, s8
	s_delay_alu instid0(VALU_DEP_1)
	v_or_b32_e32 v40, v118, v3
.LBB2_727:                              ;   in Loop: Header=BB2_569 Depth=2
	s_or_b32 exec_lo, exec_lo, s20
                                        ; implicit-def: $vgpr3
.LBB2_728:                              ;   in Loop: Header=BB2_569 Depth=2
	s_and_not1_saveexec_b32 s8, s19
; %bb.729:                              ;   in Loop: Header=BB2_569 Depth=2
	v_or_b32_e32 v40, 0x7e, v3
; %bb.730:                              ;   in Loop: Header=BB2_569 Depth=2
	s_or_b32 exec_lo, exec_lo, s8
                                        ; implicit-def: $vgpr3
.LBB2_731:                              ;   in Loop: Header=BB2_569 Depth=2
	s_and_not1_saveexec_b32 s8, s18
; %bb.732:                              ;   in Loop: Header=BB2_569 Depth=2
	v_or_b32_e32 v40, 0x7f, v3
; %bb.733:                              ;   in Loop: Header=BB2_569 Depth=2
	s_or_b32 exec_lo, exec_lo, s8
	v_lshrrev_b32_e32 v119, 24, v2
	v_lshrrev_b32_e32 v118, 24, v54
	v_cmp_lt_u32_e32 vcc_lo, 0xffffff, v2
                                        ; implicit-def: $vgpr3
	s_and_saveexec_b32 s8, s6
	s_delay_alu instid0(SALU_CYCLE_1)
	s_xor_b32 s18, exec_lo, s8
	s_cbranch_execz .LBB2_751
; %bb.734:                              ;   in Loop: Header=BB2_569 Depth=2
	v_dual_mov_b32 v41, 0 :: v_dual_mov_b32 v3, 0
	s_and_saveexec_b32 s19, vcc_lo
	s_cbranch_execz .LBB2_742
; %bb.735:                              ;   in Loop: Header=BB2_569 Depth=2
	v_bfrev_b32_e32 v3, 1
	s_mov_b32 s20, exec_lo
	v_cmpx_ne_u32_e32 0x80, v119
	s_cbranch_execz .LBB2_741
; %bb.736:                              ;   in Loop: Header=BB2_569 Depth=2
	v_bfe_u32 v47, v2, 24, 7
	v_mov_b32_e32 v3, 0x7f800001
	s_mov_b32 s21, exec_lo
	s_delay_alu instid0(VALU_DEP_2)
	v_cmpx_ne_u32_e32 0x7f, v47
	s_cbranch_execz .LBB2_740
; %bb.737:                              ;   in Loop: Header=BB2_569 Depth=2
	v_dual_mov_b32 v3, v55 :: v_dual_bitop2_b32 v2, 7, v119 bitop3:0x40
	v_lshrrev_b32_e32 v46, 3, v47
	s_mov_b32 s22, exec_lo
	v_cmpx_gt_u32_e32 8, v47
; %bb.738:                              ;   in Loop: Header=BB2_569 Depth=2
	s_delay_alu instid0(VALU_DEP_3) | instskip(NEXT) | instid1(VALU_DEP_1)
	v_clz_i32_u32_e32 v46, v2
	v_min_u32_e32 v46, 32, v46
	s_delay_alu instid0(VALU_DEP_1) | instskip(SKIP_1) | instid1(VALU_DEP_2)
	v_subrev_nc_u32_e32 v47, 28, v46
	v_sub_nc_u32_e32 v46, 29, v46
	v_lshlrev_b64_e32 v[2:3], v47, v[2:3]
	s_delay_alu instid0(VALU_DEP_1)
	v_and_b32_e32 v2, 7, v2
; %bb.739:                              ;   in Loop: Header=BB2_569 Depth=2
	s_or_b32 exec_lo, exec_lo, s22
	s_delay_alu instid0(VALU_DEP_1) | instskip(SKIP_1) | instid1(VALU_DEP_2)
	v_dual_lshlrev_b32 v3, 24, v119 :: v_dual_lshlrev_b32 v2, 20, v2
	v_lshl_add_u32 v119, v46, 23, 0x3c000000
	v_and_b32_e32 v3, 0x80000000, v3
	s_delay_alu instid0(VALU_DEP_1)
	v_or3_b32 v3, v2, v3, v119
.LBB2_740:                              ;   in Loop: Header=BB2_569 Depth=2
	s_or_b32 exec_lo, exec_lo, s21
.LBB2_741:                              ;   in Loop: Header=BB2_569 Depth=2
	s_delay_alu instid0(SALU_CYCLE_1)
	s_or_b32 exec_lo, exec_lo, s20
.LBB2_742:                              ;   in Loop: Header=BB2_569 Depth=2
	s_delay_alu instid0(SALU_CYCLE_1) | instskip(NEXT) | instid1(SALU_CYCLE_1)
	s_or_b32 exec_lo, exec_lo, s19
	s_mov_b32 s19, exec_lo
	v_cmpx_lt_u32_e32 0xffffff, v54
	s_cbranch_execz .LBB2_750
; %bb.743:                              ;   in Loop: Header=BB2_569 Depth=2
	v_bfrev_b32_e32 v41, 1
	s_mov_b32 s20, exec_lo
	v_cmpx_ne_u32_e32 0x80, v118
	s_cbranch_execz .LBB2_749
; %bb.744:                              ;   in Loop: Header=BB2_569 Depth=2
	v_bfe_u32 v119, v54, 24, 7
	v_mov_b32_e32 v41, 0x7f800001
	s_mov_b32 s21, exec_lo
	s_delay_alu instid0(VALU_DEP_2)
	v_cmpx_ne_u32_e32 0x7f, v119
	s_cbranch_execz .LBB2_748
; %bb.745:                              ;   in Loop: Header=BB2_569 Depth=2
	v_dual_lshrrev_b32 v2, 3, v119 :: v_dual_bitop2_b32 v54, 7, v118 bitop3:0x40
	s_mov_b32 s22, exec_lo
	v_cmpx_gt_u32_e32 8, v119
; %bb.746:                              ;   in Loop: Header=BB2_569 Depth=2
	s_delay_alu instid0(VALU_DEP_2) | instskip(NEXT) | instid1(VALU_DEP_1)
	v_clz_i32_u32_e32 v2, v54
	v_min_u32_e32 v2, 32, v2
	s_delay_alu instid0(VALU_DEP_1) | instskip(SKIP_1) | instid1(VALU_DEP_2)
	v_subrev_nc_u32_e32 v119, 28, v2
	v_sub_nc_u32_e32 v2, 29, v2
	v_lshlrev_b64_e32 v[46:47], v119, v[54:55]
	s_delay_alu instid0(VALU_DEP_1)
	v_and_b32_e32 v54, 7, v46
; %bb.747:                              ;   in Loop: Header=BB2_569 Depth=2
	s_or_b32 exec_lo, exec_lo, s22
	v_lshlrev_b32_e32 v118, 24, v118
	s_delay_alu instid0(VALU_DEP_2) | instskip(SKIP_1) | instid1(VALU_DEP_3)
	v_lshlrev_b32_e32 v54, 20, v54
	v_lshl_add_u32 v2, v2, 23, 0x3c000000
	v_and_b32_e32 v118, 0x80000000, v118
	s_delay_alu instid0(VALU_DEP_1)
	v_or3_b32 v41, v54, v118, v2
.LBB2_748:                              ;   in Loop: Header=BB2_569 Depth=2
	s_or_b32 exec_lo, exec_lo, s21
.LBB2_749:                              ;   in Loop: Header=BB2_569 Depth=2
	s_delay_alu instid0(SALU_CYCLE_1)
	s_or_b32 exec_lo, exec_lo, s20
.LBB2_750:                              ;   in Loop: Header=BB2_569 Depth=2
	s_delay_alu instid0(SALU_CYCLE_1) | instskip(NEXT) | instid1(VALU_DEP_1)
	s_or_b32 exec_lo, exec_lo, s19
	v_dual_max_num_f32 v2, v41, v41 :: v_dual_max_num_f32 v3, v3, v3
                                        ; implicit-def: $vgpr118
                                        ; implicit-def: $vgpr119
	s_delay_alu instid0(VALU_DEP_1)
	v_max_num_f32_e32 v3, v3, v2
.LBB2_751:                              ;   in Loop: Header=BB2_569 Depth=2
	s_and_not1_saveexec_b32 s8, s18
	s_cbranch_execz .LBB2_769
; %bb.752:                              ;   in Loop: Header=BB2_569 Depth=2
	v_dual_mov_b32 v41, 0 :: v_dual_mov_b32 v3, 0
	s_and_saveexec_b32 s18, vcc_lo
	s_cbranch_execz .LBB2_760
; %bb.753:                              ;   in Loop: Header=BB2_569 Depth=2
	v_bfrev_b32_e32 v3, 1
	s_mov_b32 s19, exec_lo
	v_cmpx_ne_u32_e32 0x80, v119
	s_cbranch_execz .LBB2_759
; %bb.754:                              ;   in Loop: Header=BB2_569 Depth=2
	v_bfe_u32 v47, v2, 24, 7
	v_mov_b32_e32 v3, 0x7f800001
	s_mov_b32 s20, exec_lo
	s_delay_alu instid0(VALU_DEP_2)
	v_cmpx_ne_u32_e32 0x7f, v47
	s_cbranch_execz .LBB2_758
; %bb.755:                              ;   in Loop: Header=BB2_569 Depth=2
	v_dual_mov_b32 v3, v55 :: v_dual_bitop2_b32 v2, 7, v119 bitop3:0x40
	v_lshrrev_b32_e32 v46, 3, v47
	s_mov_b32 s21, exec_lo
	v_cmpx_gt_u32_e32 8, v47
; %bb.756:                              ;   in Loop: Header=BB2_569 Depth=2
	s_delay_alu instid0(VALU_DEP_3) | instskip(NEXT) | instid1(VALU_DEP_1)
	v_clz_i32_u32_e32 v46, v2
	v_min_u32_e32 v46, 32, v46
	s_delay_alu instid0(VALU_DEP_1) | instskip(SKIP_1) | instid1(VALU_DEP_2)
	v_subrev_nc_u32_e32 v47, 28, v46
	v_sub_nc_u32_e32 v46, 29, v46
	v_lshlrev_b64_e32 v[2:3], v47, v[2:3]
	s_delay_alu instid0(VALU_DEP_1)
	v_and_b32_e32 v2, 7, v2
; %bb.757:                              ;   in Loop: Header=BB2_569 Depth=2
	s_or_b32 exec_lo, exec_lo, s21
	s_delay_alu instid0(VALU_DEP_1) | instskip(SKIP_1) | instid1(VALU_DEP_2)
	v_dual_lshlrev_b32 v3, 24, v119 :: v_dual_lshlrev_b32 v2, 20, v2
	v_lshl_add_u32 v119, v46, 23, 0x3c000000
	v_and_b32_e32 v3, 0x80000000, v3
	s_delay_alu instid0(VALU_DEP_1)
	v_or3_b32 v3, v2, v3, v119
.LBB2_758:                              ;   in Loop: Header=BB2_569 Depth=2
	s_or_b32 exec_lo, exec_lo, s20
.LBB2_759:                              ;   in Loop: Header=BB2_569 Depth=2
	s_delay_alu instid0(SALU_CYCLE_1)
	s_or_b32 exec_lo, exec_lo, s19
.LBB2_760:                              ;   in Loop: Header=BB2_569 Depth=2
	s_delay_alu instid0(SALU_CYCLE_1) | instskip(NEXT) | instid1(SALU_CYCLE_1)
	s_or_b32 exec_lo, exec_lo, s18
	s_mov_b32 s18, exec_lo
	v_cmpx_lt_u32_e32 0xffffff, v54
	s_cbranch_execz .LBB2_768
; %bb.761:                              ;   in Loop: Header=BB2_569 Depth=2
	v_bfrev_b32_e32 v41, 1
	s_mov_b32 s19, exec_lo
	v_cmpx_ne_u32_e32 0x80, v118
	s_cbranch_execz .LBB2_767
; %bb.762:                              ;   in Loop: Header=BB2_569 Depth=2
	v_bfe_u32 v119, v54, 24, 7
	v_mov_b32_e32 v41, 0x7f800001
	s_mov_b32 s20, exec_lo
	s_delay_alu instid0(VALU_DEP_2)
	v_cmpx_ne_u32_e32 0x7f, v119
	s_cbranch_execz .LBB2_766
; %bb.763:                              ;   in Loop: Header=BB2_569 Depth=2
	v_dual_lshrrev_b32 v2, 3, v119 :: v_dual_bitop2_b32 v54, 7, v118 bitop3:0x40
	s_mov_b32 s21, exec_lo
	v_cmpx_gt_u32_e32 8, v119
; %bb.764:                              ;   in Loop: Header=BB2_569 Depth=2
	s_delay_alu instid0(VALU_DEP_2) | instskip(NEXT) | instid1(VALU_DEP_1)
	v_clz_i32_u32_e32 v2, v54
	v_min_u32_e32 v2, 32, v2
	s_delay_alu instid0(VALU_DEP_1) | instskip(SKIP_1) | instid1(VALU_DEP_2)
	v_subrev_nc_u32_e32 v119, 28, v2
	v_sub_nc_u32_e32 v2, 29, v2
	v_lshlrev_b64_e32 v[46:47], v119, v[54:55]
	s_delay_alu instid0(VALU_DEP_1)
	v_and_b32_e32 v54, 7, v46
; %bb.765:                              ;   in Loop: Header=BB2_569 Depth=2
	s_or_b32 exec_lo, exec_lo, s21
	v_lshlrev_b32_e32 v118, 24, v118
	s_delay_alu instid0(VALU_DEP_2) | instskip(SKIP_1) | instid1(VALU_DEP_3)
	v_lshlrev_b32_e32 v54, 20, v54
	v_lshl_add_u32 v2, v2, 23, 0x3c000000
	v_and_b32_e32 v118, 0x80000000, v118
	s_delay_alu instid0(VALU_DEP_1)
	v_or3_b32 v41, v54, v118, v2
.LBB2_766:                              ;   in Loop: Header=BB2_569 Depth=2
	s_or_b32 exec_lo, exec_lo, s20
.LBB2_767:                              ;   in Loop: Header=BB2_569 Depth=2
	s_delay_alu instid0(SALU_CYCLE_1)
	s_or_b32 exec_lo, exec_lo, s19
.LBB2_768:                              ;   in Loop: Header=BB2_569 Depth=2
	s_delay_alu instid0(SALU_CYCLE_1) | instskip(NEXT) | instid1(VALU_DEP_1)
	s_or_b32 exec_lo, exec_lo, s18
	v_dual_max_num_f32 v2, v41, v41 :: v_dual_max_num_f32 v3, v3, v3
	s_delay_alu instid0(VALU_DEP_1)
	v_min_num_f32_e32 v3, v3, v2
.LBB2_769:                              ;   in Loop: Header=BB2_569 Depth=2
	s_or_b32 exec_lo, exec_lo, s8
	s_delay_alu instid0(VALU_DEP_1) | instskip(SKIP_2) | instid1(VALU_DEP_2)
	v_and_b32_e32 v54, 0x7f800000, v3
	v_lshrrev_b32_e32 v2, 24, v3
                                        ; implicit-def: $vgpr41
	s_mov_b32 s8, exec_lo
	v_cmpx_ne_u64_e32 0x7f800000, v[54:55]
	s_xor_b32 s18, exec_lo, s8
	s_cbranch_execz .LBB2_783
; %bb.770:                              ;   in Loop: Header=BB2_569 Depth=2
	v_and_b32_e32 v54, 0x7fffffff, v3
	v_and_b32_e32 v46, 0x80, v2
                                        ; implicit-def: $vgpr41
	s_mov_b32 s8, exec_lo
	s_delay_alu instid0(VALU_DEP_2)
	v_cmpx_gt_u64_e32 0x43e00001, v[54:55]
	s_xor_b32 s19, exec_lo, s8
	s_cbranch_execz .LBB2_780
; %bb.771:                              ;   in Loop: Header=BB2_569 Depth=2
	v_mov_b32_e32 v41, 0
	s_mov_b32 s20, exec_lo
	v_cmpx_ne_u32_e32 0, v3
	s_cbranch_execz .LBB2_779
; %bb.772:                              ;   in Loop: Header=BB2_569 Depth=2
	v_bfe_u32 v41, v3, 23, 8
	v_and_b32_e32 v54, 0x7fffff, v3
	s_delay_alu instid0(VALU_DEP_2) | instskip(SKIP_1) | instid1(VALU_DEP_3)
	v_sub_nc_u32_e32 v2, 0x79, v41
	v_cmp_gt_u32_e32 vcc_lo, 0x7a, v41
	v_or_b32_e32 v118, 0x800000, v54
	s_delay_alu instid0(VALU_DEP_3) | instskip(SKIP_1) | instid1(VALU_DEP_2)
	v_cndmask_b32_e32 v2, 0, v2, vcc_lo
	v_cmp_eq_u32_e32 vcc_lo, 0, v41
	v_cndmask_b32_e64 v47, v2, 0x78, vcc_lo
	s_delay_alu instid0(VALU_DEP_1) | instskip(SKIP_1) | instid1(VALU_DEP_2)
	v_dual_cndmask_b32 v54, v118, v54, vcc_lo :: v_dual_add_nc_u32 v2, 20, v47
	v_add_nc_u32_e32 v119, 19, v47
	v_lshlrev_b64_e64 v[2:3], v2, -1
	s_delay_alu instid0(VALU_DEP_2) | instskip(NEXT) | instid1(VALU_DEP_2)
	v_lshlrev_b64_e64 v[118:119], v119, 1
	v_bfi_b32 v59, v3, 0, 0
	s_delay_alu instid0(VALU_DEP_3) | instskip(SKIP_1) | instid1(VALU_DEP_2)
	v_bfi_b32 v58, v2, 0, v54
	v_lshrrev_b64 v[2:3], v47, v[54:55]
	v_cmp_eq_u64_e64 s8, v[58:59], v[118:119]
	s_delay_alu instid0(VALU_DEP_2)
	v_mov_b64_e32 v[118:119], v[2:3]
	s_and_saveexec_b32 s21, s8
; %bb.773:                              ;   in Loop: Header=BB2_569 Depth=2
	v_bfe_u32 v54, v2, 20, 1
	s_delay_alu instid0(VALU_DEP_1) | instskip(NEXT) | instid1(VALU_DEP_1)
	v_add_nc_u64_e32 v[118:119], v[2:3], v[54:55]
	v_add_nc_u64_e32 v[118:119], -1, v[118:119]
; %bb.774:                              ;   in Loop: Header=BB2_569 Depth=2
	s_or_b32 exec_lo, exec_lo, s21
	v_add_nc_u32_e32 v3, 0xffffff81, v41
	v_lshrrev_b32_e32 v54, 23, v2
	s_mov_b32 s8, exec_lo
	s_delay_alu instid0(VALU_DEP_2) | instskip(NEXT) | instid1(VALU_DEP_1)
	v_cndmask_b32_e64 v3, v3, 0xffffff82, vcc_lo
	v_add3_u32 v119, v47, v3, v54
	v_and_b32_e32 v3, 0xfffff, v118
                                        ; implicit-def: $vgpr118
	s_delay_alu instid0(VALU_DEP_1) | instskip(NEXT) | instid1(VALU_DEP_1)
	v_dual_add_nc_u32 v41, 6, v119 :: v_dual_add_nc_u32 v54, v3, v2
                                        ; implicit-def: $vgpr2_vgpr3
	v_cmpx_ne_u32_e32 0, v41
	s_xor_b32 s8, exec_lo, s8
; %bb.775:                              ;   in Loop: Header=BB2_569 Depth=2
	s_delay_alu instid0(VALU_DEP_2) | instskip(SKIP_1) | instid1(VALU_DEP_1)
	v_cmp_lt_u64_e32 vcc_lo, 0xffffff, v[54:55]
	v_add_nc_u32_e32 v2, 7, v119
	v_cndmask_b32_e32 v118, v41, v2, vcc_lo
	v_cndmask_b32_e64 v2, 0, 1, vcc_lo
	s_delay_alu instid0(VALU_DEP_1)
	v_lshrrev_b64 v[2:3], v2, v[54:55]
; %bb.776:                              ;   in Loop: Header=BB2_569 Depth=2
	s_and_not1_saveexec_b32 s8, s8
; %bb.777:                              ;   in Loop: Header=BB2_569 Depth=2
	v_mov_b64_e32 v[2:3], v[54:55]
	v_bfe_u32 v118, v54, 23, 1
; %bb.778:                              ;   in Loop: Header=BB2_569 Depth=2
	s_or_b32 exec_lo, exec_lo, s8
	s_delay_alu instid0(VALU_DEP_2) | instskip(NEXT) | instid1(VALU_DEP_2)
	v_lshrrev_b64 v[2:3], 20, v[2:3]
	v_cmp_gt_i32_e32 vcc_lo, 16, v118
	v_min_i32_e32 v54, 15, v118
	v_cmp_eq_u32_e64 s8, 0, v118
	s_delay_alu instid0(VALU_DEP_2) | instskip(SKIP_1) | instid1(VALU_DEP_2)
	v_dual_cndmask_b32 v3, 0, v3 :: v_dual_lshlrev_b32 v54, 3, v54
	v_cndmask_b32_e32 v2, 7, v2, vcc_lo
	v_and_b32_e32 v54, 0xf8, v54
	s_delay_alu instid0(VALU_DEP_2) | instskip(NEXT) | instid1(VALU_DEP_2)
	v_cmp_eq_u64_e32 vcc_lo, 0, v[2:3]
	v_and_or_b32 v2, v2, 7, v54
	s_and_b32 s8, s8, vcc_lo
	s_delay_alu instid0(VALU_DEP_1) | instid1(SALU_CYCLE_1)
	v_cndmask_b32_e64 v2, v2, 0, s8
	s_delay_alu instid0(VALU_DEP_1)
	v_or_b32_e32 v41, v2, v46
.LBB2_779:                              ;   in Loop: Header=BB2_569 Depth=2
	s_or_b32 exec_lo, exec_lo, s20
                                        ; implicit-def: $vgpr46
.LBB2_780:                              ;   in Loop: Header=BB2_569 Depth=2
	s_and_not1_saveexec_b32 s8, s19
; %bb.781:                              ;   in Loop: Header=BB2_569 Depth=2
	v_or_b32_e32 v41, 0x7e, v46
; %bb.782:                              ;   in Loop: Header=BB2_569 Depth=2
	s_or_b32 exec_lo, exec_lo, s8
                                        ; implicit-def: $vgpr2
.LBB2_783:                              ;   in Loop: Header=BB2_569 Depth=2
	s_and_not1_saveexec_b32 s8, s18
; %bb.784:                              ;   in Loop: Header=BB2_569 Depth=2
	v_or_b32_e32 v41, 0x7f, v2
; %bb.785:                              ;   in Loop: Header=BB2_569 Depth=2
	s_or_b32 exec_lo, exec_lo, s8
	v_and_b32_e32 v118, 0xff, v4
	v_alignbit_b32 v54, v44, v45, v5
	v_mov_b32_e32 v5, v55
                                        ; implicit-def: $vgpr2
	s_delay_alu instid0(VALU_DEP_3) | instskip(SKIP_1) | instid1(SALU_CYCLE_1)
	v_cmp_ne_u16_e32 vcc_lo, 0, v118
	s_and_saveexec_b32 s8, s6
	s_xor_b32 s18, exec_lo, s8
	s_cbranch_execz .LBB2_799
; %bb.786:                              ;   in Loop: Header=BB2_569 Depth=2
	v_dual_mov_b32 v3, 0 :: v_dual_mov_b32 v2, 0
	s_and_saveexec_b32 s19, vcc_lo
	s_cbranch_execz .LBB2_792
; %bb.787:                              ;   in Loop: Header=BB2_569 Depth=2
	v_bfrev_b32_e32 v2, 1
	s_mov_b32 s20, exec_lo
	v_cmpx_ne_u16_e32 0x80, v118
	s_cbranch_execz .LBB2_791
; %bb.788:                              ;   in Loop: Header=BB2_569 Depth=2
	v_and_b32_e32 v118, 0x7f, v4
	v_mov_b32_e32 v2, 0x7f800001
	s_mov_b32 s21, exec_lo
	s_delay_alu instid0(VALU_DEP_2)
	v_cmpx_ne_u32_e32 0x7f, v118
	s_cbranch_execz .LBB2_790
; %bb.789:                              ;   in Loop: Header=BB2_569 Depth=2
	v_dual_lshrrev_b32 v119, 3, v118 :: v_dual_bitop2_b32 v2, 7, v4 bitop3:0x40
	v_cmp_gt_u32_e64 s8, 8, v118
	s_delay_alu instid0(VALU_DEP_2) | instskip(NEXT) | instid1(VALU_DEP_1)
	v_clz_i32_u32_e32 v2, v2
	v_min_u32_e32 v2, 32, v2
	s_delay_alu instid0(VALU_DEP_1) | instskip(NEXT) | instid1(VALU_DEP_1)
	v_subrev_nc_u32_e32 v44, 28, v2
	v_dual_sub_nc_u32 v2, 29, v2 :: v_dual_cndmask_b32 v118, 0, v44, s8
	s_delay_alu instid0(VALU_DEP_1) | instskip(NEXT) | instid1(VALU_DEP_2)
	v_cndmask_b32_e64 v2, v119, v2, s8
	v_lshlrev_b64_e32 v[118:119], v118, v[4:5]
	v_lshlrev_b32_e32 v5, 24, v4
	s_delay_alu instid0(VALU_DEP_3) | instskip(NEXT) | instid1(VALU_DEP_2)
	v_lshl_add_u32 v2, v2, 23, 0x3c000000
	v_and_b32_e32 v5, 0x80000000, v5
	s_delay_alu instid0(VALU_DEP_4) | instskip(NEXT) | instid1(VALU_DEP_1)
	v_lshlrev_b32_e32 v118, 20, v118
	v_and_b32_e32 v118, 0x700000, v118
	s_delay_alu instid0(VALU_DEP_1)
	v_or3_b32 v2, v118, v5, v2
.LBB2_790:                              ;   in Loop: Header=BB2_569 Depth=2
	s_or_b32 exec_lo, exec_lo, s21
.LBB2_791:                              ;   in Loop: Header=BB2_569 Depth=2
	s_delay_alu instid0(SALU_CYCLE_1)
	s_or_b32 exec_lo, exec_lo, s20
.LBB2_792:                              ;   in Loop: Header=BB2_569 Depth=2
	s_delay_alu instid0(SALU_CYCLE_1) | instskip(SKIP_2) | instid1(VALU_DEP_1)
	s_or_b32 exec_lo, exec_lo, s19
	v_and_b32_e32 v5, 0xff, v54
	s_mov_b32 s19, exec_lo
	v_cmpx_ne_u16_e32 0, v5
	s_cbranch_execz .LBB2_798
; %bb.793:                              ;   in Loop: Header=BB2_569 Depth=2
	v_bfrev_b32_e32 v3, 1
	s_mov_b32 s20, exec_lo
	v_cmpx_ne_u16_e32 0x80, v5
	s_cbranch_execz .LBB2_797
; %bb.794:                              ;   in Loop: Header=BB2_569 Depth=2
	v_and_b32_e32 v5, 0x7f, v54
	v_mov_b32_e32 v3, 0x7f800001
	s_mov_b32 s21, exec_lo
	s_delay_alu instid0(VALU_DEP_2)
	v_cmpx_ne_u32_e32 0x7f, v5
	s_cbranch_execz .LBB2_796
; %bb.795:                              ;   in Loop: Header=BB2_569 Depth=2
	v_dual_lshrrev_b32 v118, 3, v5 :: v_dual_bitop2_b32 v3, 7, v54 bitop3:0x40
	v_cmp_gt_u32_e64 s8, 8, v5
	s_delay_alu instid0(VALU_DEP_2) | instskip(NEXT) | instid1(VALU_DEP_1)
	v_clz_i32_u32_e32 v3, v3
	v_min_u32_e32 v3, 32, v3
	s_delay_alu instid0(VALU_DEP_1) | instskip(SKIP_1) | instid1(VALU_DEP_2)
	v_subrev_nc_u32_e32 v119, 28, v3
	v_sub_nc_u32_e32 v3, 29, v3
	v_cndmask_b32_e64 v5, 0, v119, s8
	s_delay_alu instid0(VALU_DEP_2) | instskip(NEXT) | instid1(VALU_DEP_2)
	v_cndmask_b32_e64 v3, v118, v3, s8
	v_lshlrev_b64_e32 v[118:119], v5, v[54:55]
	v_lshlrev_b32_e32 v5, 24, v54
	s_delay_alu instid0(VALU_DEP_1) | instskip(NEXT) | instid1(VALU_DEP_3)
	v_and_b32_e32 v5, 0x80000000, v5
	v_lshlrev_b32_e32 v118, 20, v118
	v_lshl_add_u32 v3, v3, 23, 0x3c000000
	s_delay_alu instid0(VALU_DEP_2) | instskip(NEXT) | instid1(VALU_DEP_1)
	v_and_b32_e32 v118, 0x700000, v118
	v_or3_b32 v3, v118, v5, v3
.LBB2_796:                              ;   in Loop: Header=BB2_569 Depth=2
	s_or_b32 exec_lo, exec_lo, s21
.LBB2_797:                              ;   in Loop: Header=BB2_569 Depth=2
	s_delay_alu instid0(SALU_CYCLE_1)
	s_or_b32 exec_lo, exec_lo, s20
.LBB2_798:                              ;   in Loop: Header=BB2_569 Depth=2
	s_delay_alu instid0(SALU_CYCLE_1) | instskip(NEXT) | instid1(VALU_DEP_1)
	s_or_b32 exec_lo, exec_lo, s19
	v_dual_max_num_f32 v3, v3, v3 :: v_dual_max_num_f32 v2, v2, v2
                                        ; implicit-def: $vgpr118
	s_delay_alu instid0(VALU_DEP_1)
	v_max_num_f32_e32 v2, v2, v3
.LBB2_799:                              ;   in Loop: Header=BB2_569 Depth=2
	s_and_not1_saveexec_b32 s8, s18
	s_cbranch_execz .LBB2_813
; %bb.800:                              ;   in Loop: Header=BB2_569 Depth=2
	v_dual_mov_b32 v3, 0 :: v_dual_mov_b32 v2, 0
	s_and_saveexec_b32 s18, vcc_lo
	s_cbranch_execz .LBB2_806
; %bb.801:                              ;   in Loop: Header=BB2_569 Depth=2
	v_bfrev_b32_e32 v2, 1
	s_mov_b32 s19, exec_lo
	v_cmpx_ne_u16_e32 0x80, v118
	s_cbranch_execz .LBB2_805
; %bb.802:                              ;   in Loop: Header=BB2_569 Depth=2
	v_and_b32_e32 v118, 0x7f, v4
	v_mov_b32_e32 v2, 0x7f800001
	s_mov_b32 s20, exec_lo
	s_delay_alu instid0(VALU_DEP_2)
	v_cmpx_ne_u32_e32 0x7f, v118
	s_cbranch_execz .LBB2_804
; %bb.803:                              ;   in Loop: Header=BB2_569 Depth=2
	v_dual_lshrrev_b32 v119, 3, v118 :: v_dual_bitop2_b32 v2, 7, v4 bitop3:0x40
	v_cmp_gt_u32_e32 vcc_lo, 8, v118
	s_delay_alu instid0(VALU_DEP_2) | instskip(NEXT) | instid1(VALU_DEP_1)
	v_clz_i32_u32_e32 v2, v2
	v_min_u32_e32 v2, 32, v2
	s_delay_alu instid0(VALU_DEP_1) | instskip(NEXT) | instid1(VALU_DEP_1)
	v_subrev_nc_u32_e32 v44, 28, v2
	v_dual_sub_nc_u32 v2, 29, v2 :: v_dual_cndmask_b32 v118, 0, v44, vcc_lo
	s_delay_alu instid0(VALU_DEP_1) | instskip(NEXT) | instid1(VALU_DEP_2)
	v_cndmask_b32_e32 v2, v119, v2, vcc_lo
	v_lshlrev_b64_e32 v[118:119], v118, v[4:5]
	v_lshlrev_b32_e32 v5, 24, v4
	s_delay_alu instid0(VALU_DEP_3) | instskip(NEXT) | instid1(VALU_DEP_2)
	v_lshl_add_u32 v2, v2, 23, 0x3c000000
	v_and_b32_e32 v5, 0x80000000, v5
	s_delay_alu instid0(VALU_DEP_4) | instskip(NEXT) | instid1(VALU_DEP_1)
	v_lshlrev_b32_e32 v118, 20, v118
	v_and_b32_e32 v118, 0x700000, v118
	s_delay_alu instid0(VALU_DEP_1)
	v_or3_b32 v2, v118, v5, v2
.LBB2_804:                              ;   in Loop: Header=BB2_569 Depth=2
	s_or_b32 exec_lo, exec_lo, s20
.LBB2_805:                              ;   in Loop: Header=BB2_569 Depth=2
	s_delay_alu instid0(SALU_CYCLE_1)
	s_or_b32 exec_lo, exec_lo, s19
.LBB2_806:                              ;   in Loop: Header=BB2_569 Depth=2
	s_delay_alu instid0(SALU_CYCLE_1) | instskip(SKIP_2) | instid1(VALU_DEP_1)
	s_or_b32 exec_lo, exec_lo, s18
	v_and_b32_e32 v5, 0xff, v54
	s_mov_b32 s18, exec_lo
	v_cmpx_ne_u16_e32 0, v5
	s_cbranch_execz .LBB2_812
; %bb.807:                              ;   in Loop: Header=BB2_569 Depth=2
	v_bfrev_b32_e32 v3, 1
	s_mov_b32 s19, exec_lo
	v_cmpx_ne_u16_e32 0x80, v5
	s_cbranch_execz .LBB2_811
; %bb.808:                              ;   in Loop: Header=BB2_569 Depth=2
	v_and_b32_e32 v5, 0x7f, v54
	v_mov_b32_e32 v3, 0x7f800001
	s_mov_b32 s20, exec_lo
	s_delay_alu instid0(VALU_DEP_2)
	v_cmpx_ne_u32_e32 0x7f, v5
	s_cbranch_execz .LBB2_810
; %bb.809:                              ;   in Loop: Header=BB2_569 Depth=2
	v_dual_lshrrev_b32 v118, 3, v5 :: v_dual_bitop2_b32 v3, 7, v54 bitop3:0x40
	v_cmp_gt_u32_e32 vcc_lo, 8, v5
	s_delay_alu instid0(VALU_DEP_2) | instskip(NEXT) | instid1(VALU_DEP_1)
	v_clz_i32_u32_e32 v3, v3
	v_min_u32_e32 v3, 32, v3
	s_delay_alu instid0(VALU_DEP_1) | instskip(SKIP_1) | instid1(VALU_DEP_2)
	v_subrev_nc_u32_e32 v119, 28, v3
	v_sub_nc_u32_e32 v3, 29, v3
	v_cndmask_b32_e32 v5, 0, v119, vcc_lo
	s_delay_alu instid0(VALU_DEP_2) | instskip(NEXT) | instid1(VALU_DEP_2)
	v_cndmask_b32_e32 v3, v118, v3, vcc_lo
	v_lshlrev_b64_e32 v[118:119], v5, v[54:55]
	v_lshlrev_b32_e32 v5, 24, v54
	s_delay_alu instid0(VALU_DEP_1) | instskip(NEXT) | instid1(VALU_DEP_3)
	v_and_b32_e32 v5, 0x80000000, v5
	v_lshlrev_b32_e32 v118, 20, v118
	v_lshl_add_u32 v3, v3, 23, 0x3c000000
	s_delay_alu instid0(VALU_DEP_2) | instskip(NEXT) | instid1(VALU_DEP_1)
	v_and_b32_e32 v118, 0x700000, v118
	v_or3_b32 v3, v118, v5, v3
.LBB2_810:                              ;   in Loop: Header=BB2_569 Depth=2
	s_or_b32 exec_lo, exec_lo, s20
.LBB2_811:                              ;   in Loop: Header=BB2_569 Depth=2
	s_delay_alu instid0(SALU_CYCLE_1)
	s_or_b32 exec_lo, exec_lo, s19
.LBB2_812:                              ;   in Loop: Header=BB2_569 Depth=2
	s_delay_alu instid0(SALU_CYCLE_1) | instskip(NEXT) | instid1(VALU_DEP_1)
	s_or_b32 exec_lo, exec_lo, s18
	v_dual_max_num_f32 v3, v3, v3 :: v_dual_max_num_f32 v2, v2, v2
	s_delay_alu instid0(VALU_DEP_1)
	v_min_num_f32_e32 v2, v2, v3
.LBB2_813:                              ;   in Loop: Header=BB2_569 Depth=2
	s_or_b32 exec_lo, exec_lo, s8
	s_delay_alu instid0(VALU_DEP_1) | instskip(SKIP_2) | instid1(VALU_DEP_1)
	v_and_b32_e32 v118, 0x7f800000, v2
	v_dual_mov_b32 v119, v55 :: v_dual_lshrrev_b32 v3, 24, v2
                                        ; implicit-def: $vgpr44
	s_mov_b32 s8, exec_lo
	v_cmpx_ne_u64_e32 0x7f800000, v[118:119]
	s_xor_b32 s18, exec_lo, s8
	s_cbranch_execz .LBB2_827
; %bb.814:                              ;   in Loop: Header=BB2_569 Depth=2
	v_and_b32_e32 v118, 0x7fffffff, v2
	v_mov_b32_e32 v119, v55
	v_and_b32_e32 v5, 0x80, v3
                                        ; implicit-def: $vgpr44
	s_mov_b32 s8, exec_lo
	s_delay_alu instid0(VALU_DEP_2)
	v_cmpx_gt_u64_e32 0x43e00001, v[118:119]
	s_xor_b32 s19, exec_lo, s8
	s_cbranch_execz .LBB2_824
; %bb.815:                              ;   in Loop: Header=BB2_569 Depth=2
	v_mov_b32_e32 v44, 0
	s_mov_b32 s20, exec_lo
	v_cmpx_ne_u32_e32 0, v2
	s_cbranch_execz .LBB2_823
; %bb.816:                              ;   in Loop: Header=BB2_569 Depth=2
	v_bfe_u32 v44, v2, 23, 8
	v_and_b32_e32 v118, 0x7fffff, v2
	s_mov_b32 s21, exec_lo
	s_delay_alu instid0(VALU_DEP_2) | instskip(NEXT) | instid1(VALU_DEP_2)
	v_cmp_gt_u32_e32 vcc_lo, 0x7a, v44
	v_or_b32_e32 v119, 0x800000, v118
	v_sub_nc_u32_e32 v3, 0x79, v44
	s_delay_alu instid0(VALU_DEP_1) | instskip(SKIP_1) | instid1(VALU_DEP_2)
	v_cndmask_b32_e32 v3, 0, v3, vcc_lo
	v_cmp_eq_u32_e32 vcc_lo, 0, v44
	v_cndmask_b32_e64 v45, v3, 0x78, vcc_lo
	v_cndmask_b32_e32 v118, v119, v118, vcc_lo
	s_delay_alu instid0(VALU_DEP_2) | instskip(SKIP_1) | instid1(VALU_DEP_2)
	v_dual_mov_b32 v119, v55 :: v_dual_add_nc_u32 v46, 19, v45
	v_add_nc_u32_e32 v2, 20, v45
	v_lshlrev_b64_e64 v[46:47], v46, 1
	s_delay_alu instid0(VALU_DEP_2) | instskip(NEXT) | instid1(VALU_DEP_1)
	v_lshlrev_b64_e64 v[2:3], v2, -1
	v_bfi_b32 v59, v3, 0, 0
	s_delay_alu instid0(VALU_DEP_2) | instskip(SKIP_1) | instid1(VALU_DEP_1)
	v_bfi_b32 v58, v2, 0, v118
	v_lshrrev_b64 v[2:3], v45, v[118:119]
	v_mov_b64_e32 v[118:119], v[2:3]
	s_delay_alu instid0(VALU_DEP_3)
	v_cmpx_eq_u64_e64 v[58:59], v[46:47]
; %bb.817:                              ;   in Loop: Header=BB2_569 Depth=2
	v_bfe_u32 v118, v2, 20, 1
	v_mov_b32_e32 v119, v55
	s_delay_alu instid0(VALU_DEP_1) | instskip(NEXT) | instid1(VALU_DEP_1)
	v_add_nc_u64_e32 v[118:119], v[2:3], v[118:119]
	v_add_nc_u64_e32 v[118:119], -1, v[118:119]
; %bb.818:                              ;   in Loop: Header=BB2_569 Depth=2
	s_or_b32 exec_lo, exec_lo, s21
	v_add_nc_u32_e32 v3, 0xffffff81, v44
	v_lshrrev_b32_e32 v119, 23, v2
	s_mov_b32 s8, exec_lo
	s_delay_alu instid0(VALU_DEP_2) | instskip(NEXT) | instid1(VALU_DEP_1)
	v_cndmask_b32_e64 v3, v3, 0xffffff82, vcc_lo
	v_add3_u32 v119, v45, v3, v119
	v_and_b32_e32 v3, 0xfffff, v118
                                        ; implicit-def: $vgpr118
	s_delay_alu instid0(VALU_DEP_1) | instskip(SKIP_1) | instid1(VALU_DEP_2)
	v_dual_add_nc_u32 v44, 6, v119 :: v_dual_add_nc_u32 v2, v3, v2
	v_mov_b32_e32 v3, v55
	v_cmpx_ne_u32_e32 0, v44
	s_xor_b32 s8, exec_lo, s8
; %bb.819:                              ;   in Loop: Header=BB2_569 Depth=2
	s_delay_alu instid0(VALU_DEP_2) | instskip(SKIP_2) | instid1(VALU_DEP_2)
	v_cmp_lt_u64_e32 vcc_lo, 0xffffff, v[2:3]
	v_add_nc_u32_e32 v118, 7, v119
	v_cndmask_b32_e64 v119, 0, 1, vcc_lo
	v_cndmask_b32_e32 v118, v44, v118, vcc_lo
	s_delay_alu instid0(VALU_DEP_2)
	v_lshrrev_b64 v[2:3], v119, v[2:3]
; %bb.820:                              ;   in Loop: Header=BB2_569 Depth=2
	s_and_not1_saveexec_b32 s8, s8
; %bb.821:                              ;   in Loop: Header=BB2_569 Depth=2
	s_delay_alu instid0(VALU_DEP_1)
	v_bfe_u32 v118, v2, 23, 1
; %bb.822:                              ;   in Loop: Header=BB2_569 Depth=2
	s_or_b32 exec_lo, exec_lo, s8
	s_delay_alu instid0(VALU_DEP_2) | instskip(NEXT) | instid1(VALU_DEP_2)
	v_lshrrev_b64 v[2:3], 20, v[2:3]
	v_cmp_gt_i32_e32 vcc_lo, 16, v118
	v_min_i32_e32 v119, 15, v118
	v_cmp_eq_u32_e64 s8, 0, v118
	s_delay_alu instid0(VALU_DEP_4) | instskip(NEXT) | instid1(VALU_DEP_3)
	v_cndmask_b32_e32 v3, 0, v3, vcc_lo
	v_dual_cndmask_b32 v2, 7, v2 :: v_dual_lshlrev_b32 v119, 3, v119
	s_delay_alu instid0(VALU_DEP_1) | instskip(NEXT) | instid1(VALU_DEP_2)
	v_and_b32_e32 v119, 0xf8, v119
	v_cmp_eq_u64_e32 vcc_lo, 0, v[2:3]
	s_delay_alu instid0(VALU_DEP_2)
	v_and_or_b32 v2, v2, 7, v119
	s_and_b32 s8, s8, vcc_lo
	s_delay_alu instid0(VALU_DEP_1) | instid1(SALU_CYCLE_1)
	v_cndmask_b32_e64 v2, v2, 0, s8
	s_delay_alu instid0(VALU_DEP_1)
	v_or_b32_e32 v44, v2, v5
.LBB2_823:                              ;   in Loop: Header=BB2_569 Depth=2
	s_or_b32 exec_lo, exec_lo, s20
                                        ; implicit-def: $vgpr5
.LBB2_824:                              ;   in Loop: Header=BB2_569 Depth=2
	s_and_not1_saveexec_b32 s8, s19
; %bb.825:                              ;   in Loop: Header=BB2_569 Depth=2
	v_or_b32_e32 v44, 0x7e, v5
; %bb.826:                              ;   in Loop: Header=BB2_569 Depth=2
	s_or_b32 exec_lo, exec_lo, s8
                                        ; implicit-def: $vgpr3
.LBB2_827:                              ;   in Loop: Header=BB2_569 Depth=2
	s_and_not1_saveexec_b32 s8, s18
; %bb.828:                              ;   in Loop: Header=BB2_569 Depth=2
	v_or_b32_e32 v44, 0x7f, v3
; %bb.829:                              ;   in Loop: Header=BB2_569 Depth=2
	s_or_b32 exec_lo, exec_lo, s8
	v_lshrrev_b16 v3, 8, v4
	v_lshrrev_b16 v5, 8, v54
                                        ; implicit-def: $vgpr2
	s_delay_alu instid0(VALU_DEP_2) | instskip(SKIP_1) | instid1(SALU_CYCLE_1)
	v_cmp_ne_u16_e32 vcc_lo, 0, v3
	s_and_saveexec_b32 s8, s6
	s_xor_b32 s18, exec_lo, s8
	s_cbranch_execz .LBB2_847
; %bb.830:                              ;   in Loop: Header=BB2_569 Depth=2
	v_dual_mov_b32 v119, 0 :: v_dual_mov_b32 v118, 0
	s_and_saveexec_b32 s19, vcc_lo
	s_cbranch_execz .LBB2_838
; %bb.831:                              ;   in Loop: Header=BB2_569 Depth=2
	v_bfrev_b32_e32 v118, 1
	s_mov_b32 s20, exec_lo
	v_cmpx_ne_u16_e32 0x80, v3
	s_cbranch_execz .LBB2_837
; %bb.832:                              ;   in Loop: Header=BB2_569 Depth=2
	v_and_b32_e32 v2, 0xffff, v3
	v_mov_b32_e32 v118, 0x7f800001
	s_mov_b32 s21, exec_lo
	s_delay_alu instid0(VALU_DEP_2) | instskip(NEXT) | instid1(VALU_DEP_1)
	v_and_b32_e32 v45, 0x7f, v2
	v_cmpx_ne_u32_e32 0x7f, v45
	s_cbranch_execz .LBB2_836
; %bb.833:                              ;   in Loop: Header=BB2_569 Depth=2
	v_dual_mov_b32 v3, v55 :: v_dual_bitop2_b32 v2, 7, v2 bitop3:0x40
	v_lshrrev_b32_e32 v118, 3, v45
	s_mov_b32 s22, exec_lo
	v_cmpx_gt_u32_e32 8, v45
; %bb.834:                              ;   in Loop: Header=BB2_569 Depth=2
	s_delay_alu instid0(VALU_DEP_3) | instskip(NEXT) | instid1(VALU_DEP_1)
	v_clz_i32_u32_e32 v118, v2
	v_min_u32_e32 v118, 32, v118
	s_delay_alu instid0(VALU_DEP_1) | instskip(SKIP_1) | instid1(VALU_DEP_2)
	v_subrev_nc_u32_e32 v45, 28, v118
	v_sub_nc_u32_e32 v118, 29, v118
	v_lshlrev_b64_e32 v[2:3], v45, v[2:3]
	s_delay_alu instid0(VALU_DEP_1)
	v_and_b32_e32 v2, 7, v2
; %bb.835:                              ;   in Loop: Header=BB2_569 Depth=2
	s_or_b32 exec_lo, exec_lo, s22
	s_delay_alu instid0(VALU_DEP_1) | instskip(SKIP_1) | instid1(VALU_DEP_2)
	v_dual_lshlrev_b32 v3, 16, v4 :: v_dual_lshlrev_b32 v2, 20, v2
	v_lshl_add_u32 v118, v118, 23, 0x3c000000
	v_and_b32_e32 v3, 0x80000000, v3
	s_delay_alu instid0(VALU_DEP_1)
	v_or3_b32 v118, v2, v3, v118
.LBB2_836:                              ;   in Loop: Header=BB2_569 Depth=2
	s_or_b32 exec_lo, exec_lo, s21
.LBB2_837:                              ;   in Loop: Header=BB2_569 Depth=2
	s_delay_alu instid0(SALU_CYCLE_1)
	s_or_b32 exec_lo, exec_lo, s20
.LBB2_838:                              ;   in Loop: Header=BB2_569 Depth=2
	s_delay_alu instid0(SALU_CYCLE_1) | instskip(NEXT) | instid1(SALU_CYCLE_1)
	s_or_b32 exec_lo, exec_lo, s19
	s_mov_b32 s19, exec_lo
	v_cmpx_ne_u16_e32 0, v5
	s_cbranch_execz .LBB2_846
; %bb.839:                              ;   in Loop: Header=BB2_569 Depth=2
	v_bfrev_b32_e32 v119, 1
	s_mov_b32 s20, exec_lo
	v_cmpx_ne_u16_e32 0x80, v5
	s_cbranch_execz .LBB2_845
; %bb.840:                              ;   in Loop: Header=BB2_569 Depth=2
	v_and_b32_e32 v2, 0xffff, v5
	v_mov_b32_e32 v119, 0x7f800001
	s_mov_b32 s21, exec_lo
	s_delay_alu instid0(VALU_DEP_2) | instskip(NEXT) | instid1(VALU_DEP_1)
	v_and_b32_e32 v45, 0x7f, v2
	v_cmpx_ne_u32_e32 0x7f, v45
	s_cbranch_execz .LBB2_844
; %bb.841:                              ;   in Loop: Header=BB2_569 Depth=2
	v_dual_mov_b32 v3, v55 :: v_dual_bitop2_b32 v2, 7, v2 bitop3:0x40
	v_lshrrev_b32_e32 v5, 3, v45
	s_mov_b32 s22, exec_lo
	v_cmpx_gt_u32_e32 8, v45
; %bb.842:                              ;   in Loop: Header=BB2_569 Depth=2
	s_delay_alu instid0(VALU_DEP_3) | instskip(NEXT) | instid1(VALU_DEP_1)
	v_clz_i32_u32_e32 v5, v2
	v_min_u32_e32 v5, 32, v5
	s_delay_alu instid0(VALU_DEP_1) | instskip(NEXT) | instid1(VALU_DEP_1)
	v_subrev_nc_u32_e32 v119, 28, v5
	v_lshlrev_b64_e32 v[2:3], v119, v[2:3]
	s_delay_alu instid0(VALU_DEP_1)
	v_dual_sub_nc_u32 v5, 29, v5 :: v_dual_bitop2_b32 v2, 7, v2 bitop3:0x40
; %bb.843:                              ;   in Loop: Header=BB2_569 Depth=2
	s_or_b32 exec_lo, exec_lo, s22
	v_lshlrev_b32_e32 v3, 16, v54
	s_delay_alu instid0(VALU_DEP_2) | instskip(NEXT) | instid1(VALU_DEP_3)
	v_lshlrev_b32_e32 v2, 20, v2
	v_lshl_add_u32 v5, v5, 23, 0x3c000000
	s_delay_alu instid0(VALU_DEP_3) | instskip(NEXT) | instid1(VALU_DEP_1)
	v_and_b32_e32 v3, 0x80000000, v3
	v_or3_b32 v119, v2, v3, v5
.LBB2_844:                              ;   in Loop: Header=BB2_569 Depth=2
	s_or_b32 exec_lo, exec_lo, s21
.LBB2_845:                              ;   in Loop: Header=BB2_569 Depth=2
	s_delay_alu instid0(SALU_CYCLE_1)
	s_or_b32 exec_lo, exec_lo, s20
.LBB2_846:                              ;   in Loop: Header=BB2_569 Depth=2
	s_delay_alu instid0(SALU_CYCLE_1) | instskip(NEXT) | instid1(VALU_DEP_1)
	s_or_b32 exec_lo, exec_lo, s19
	v_dual_max_num_f32 v2, v119, v119 :: v_dual_max_num_f32 v3, v118, v118
                                        ; implicit-def: $vgpr5
	s_delay_alu instid0(VALU_DEP_1)
	v_max_num_f32_e32 v2, v3, v2
                                        ; implicit-def: $vgpr3
.LBB2_847:                              ;   in Loop: Header=BB2_569 Depth=2
	s_and_not1_saveexec_b32 s8, s18
	s_cbranch_execz .LBB2_865
; %bb.848:                              ;   in Loop: Header=BB2_569 Depth=2
	v_dual_mov_b32 v119, 0 :: v_dual_mov_b32 v118, 0
	s_and_saveexec_b32 s18, vcc_lo
	s_cbranch_execz .LBB2_856
; %bb.849:                              ;   in Loop: Header=BB2_569 Depth=2
	v_bfrev_b32_e32 v118, 1
	s_mov_b32 s19, exec_lo
	v_cmpx_ne_u16_e32 0x80, v3
	s_cbranch_execz .LBB2_855
; %bb.850:                              ;   in Loop: Header=BB2_569 Depth=2
	v_and_b32_e32 v2, 0xffff, v3
	v_mov_b32_e32 v118, 0x7f800001
	s_mov_b32 s20, exec_lo
	s_delay_alu instid0(VALU_DEP_2) | instskip(NEXT) | instid1(VALU_DEP_1)
	v_and_b32_e32 v45, 0x7f, v2
	v_cmpx_ne_u32_e32 0x7f, v45
	s_cbranch_execz .LBB2_854
; %bb.851:                              ;   in Loop: Header=BB2_569 Depth=2
	v_dual_mov_b32 v3, v55 :: v_dual_bitop2_b32 v2, 7, v2 bitop3:0x40
	v_lshrrev_b32_e32 v118, 3, v45
	s_mov_b32 s21, exec_lo
	v_cmpx_gt_u32_e32 8, v45
; %bb.852:                              ;   in Loop: Header=BB2_569 Depth=2
	s_delay_alu instid0(VALU_DEP_3) | instskip(NEXT) | instid1(VALU_DEP_1)
	v_clz_i32_u32_e32 v118, v2
	v_min_u32_e32 v118, 32, v118
	s_delay_alu instid0(VALU_DEP_1) | instskip(SKIP_1) | instid1(VALU_DEP_2)
	v_subrev_nc_u32_e32 v45, 28, v118
	v_sub_nc_u32_e32 v118, 29, v118
	v_lshlrev_b64_e32 v[2:3], v45, v[2:3]
	s_delay_alu instid0(VALU_DEP_1)
	v_and_b32_e32 v2, 7, v2
; %bb.853:                              ;   in Loop: Header=BB2_569 Depth=2
	s_or_b32 exec_lo, exec_lo, s21
	s_delay_alu instid0(VALU_DEP_1) | instskip(SKIP_1) | instid1(VALU_DEP_2)
	v_dual_lshlrev_b32 v3, 16, v4 :: v_dual_lshlrev_b32 v2, 20, v2
	v_lshl_add_u32 v118, v118, 23, 0x3c000000
	v_and_b32_e32 v3, 0x80000000, v3
	s_delay_alu instid0(VALU_DEP_1)
	v_or3_b32 v118, v2, v3, v118
.LBB2_854:                              ;   in Loop: Header=BB2_569 Depth=2
	s_or_b32 exec_lo, exec_lo, s20
.LBB2_855:                              ;   in Loop: Header=BB2_569 Depth=2
	s_delay_alu instid0(SALU_CYCLE_1)
	s_or_b32 exec_lo, exec_lo, s19
.LBB2_856:                              ;   in Loop: Header=BB2_569 Depth=2
	s_delay_alu instid0(SALU_CYCLE_1) | instskip(NEXT) | instid1(SALU_CYCLE_1)
	s_or_b32 exec_lo, exec_lo, s18
	s_mov_b32 s18, exec_lo
	v_cmpx_ne_u16_e32 0, v5
	s_cbranch_execz .LBB2_864
; %bb.857:                              ;   in Loop: Header=BB2_569 Depth=2
	v_bfrev_b32_e32 v119, 1
	s_mov_b32 s19, exec_lo
	v_cmpx_ne_u16_e32 0x80, v5
	s_cbranch_execz .LBB2_863
; %bb.858:                              ;   in Loop: Header=BB2_569 Depth=2
	v_and_b32_e32 v2, 0xffff, v5
	v_mov_b32_e32 v119, 0x7f800001
	s_mov_b32 s20, exec_lo
	s_delay_alu instid0(VALU_DEP_2) | instskip(NEXT) | instid1(VALU_DEP_1)
	v_and_b32_e32 v45, 0x7f, v2
	v_cmpx_ne_u32_e32 0x7f, v45
	s_cbranch_execz .LBB2_862
; %bb.859:                              ;   in Loop: Header=BB2_569 Depth=2
	v_dual_mov_b32 v3, v55 :: v_dual_bitop2_b32 v2, 7, v2 bitop3:0x40
	v_lshrrev_b32_e32 v5, 3, v45
	s_mov_b32 s21, exec_lo
	v_cmpx_gt_u32_e32 8, v45
; %bb.860:                              ;   in Loop: Header=BB2_569 Depth=2
	s_delay_alu instid0(VALU_DEP_3) | instskip(NEXT) | instid1(VALU_DEP_1)
	v_clz_i32_u32_e32 v5, v2
	v_min_u32_e32 v5, 32, v5
	s_delay_alu instid0(VALU_DEP_1) | instskip(NEXT) | instid1(VALU_DEP_1)
	v_subrev_nc_u32_e32 v119, 28, v5
	v_lshlrev_b64_e32 v[2:3], v119, v[2:3]
	s_delay_alu instid0(VALU_DEP_1)
	v_dual_sub_nc_u32 v5, 29, v5 :: v_dual_bitop2_b32 v2, 7, v2 bitop3:0x40
; %bb.861:                              ;   in Loop: Header=BB2_569 Depth=2
	s_or_b32 exec_lo, exec_lo, s21
	v_lshlrev_b32_e32 v3, 16, v54
	s_delay_alu instid0(VALU_DEP_2) | instskip(NEXT) | instid1(VALU_DEP_3)
	v_lshlrev_b32_e32 v2, 20, v2
	v_lshl_add_u32 v5, v5, 23, 0x3c000000
	s_delay_alu instid0(VALU_DEP_3) | instskip(NEXT) | instid1(VALU_DEP_1)
	v_and_b32_e32 v3, 0x80000000, v3
	v_or3_b32 v119, v2, v3, v5
.LBB2_862:                              ;   in Loop: Header=BB2_569 Depth=2
	s_or_b32 exec_lo, exec_lo, s20
.LBB2_863:                              ;   in Loop: Header=BB2_569 Depth=2
	s_delay_alu instid0(SALU_CYCLE_1)
	s_or_b32 exec_lo, exec_lo, s19
.LBB2_864:                              ;   in Loop: Header=BB2_569 Depth=2
	s_delay_alu instid0(SALU_CYCLE_1) | instskip(NEXT) | instid1(VALU_DEP_1)
	s_or_b32 exec_lo, exec_lo, s18
	v_dual_max_num_f32 v2, v119, v119 :: v_dual_max_num_f32 v3, v118, v118
	s_delay_alu instid0(VALU_DEP_1)
	v_min_num_f32_e32 v2, v3, v2
.LBB2_865:                              ;   in Loop: Header=BB2_569 Depth=2
	s_or_b32 exec_lo, exec_lo, s8
	s_delay_alu instid0(VALU_DEP_1) | instskip(SKIP_2) | instid1(VALU_DEP_1)
	v_and_b32_e32 v118, 0x7f800000, v2
	v_dual_mov_b32 v119, v55 :: v_dual_lshrrev_b32 v3, 24, v2
                                        ; implicit-def: $vgpr45
	s_mov_b32 s8, exec_lo
	v_cmpx_ne_u64_e32 0x7f800000, v[118:119]
	s_xor_b32 s18, exec_lo, s8
	s_cbranch_execz .LBB2_879
; %bb.866:                              ;   in Loop: Header=BB2_569 Depth=2
	v_and_b32_e32 v118, 0x7fffffff, v2
	v_mov_b32_e32 v119, v55
	v_and_b32_e32 v5, 0x80, v3
                                        ; implicit-def: $vgpr45
	s_mov_b32 s8, exec_lo
	s_delay_alu instid0(VALU_DEP_2)
	v_cmpx_gt_u64_e32 0x43e00001, v[118:119]
	s_xor_b32 s19, exec_lo, s8
	s_cbranch_execz .LBB2_876
; %bb.867:                              ;   in Loop: Header=BB2_569 Depth=2
	v_mov_b32_e32 v45, 0
	s_mov_b32 s20, exec_lo
	v_cmpx_ne_u32_e32 0, v2
	s_cbranch_execz .LBB2_875
; %bb.868:                              ;   in Loop: Header=BB2_569 Depth=2
	v_bfe_u32 v45, v2, 23, 8
	v_and_b32_e32 v118, 0x7fffff, v2
	s_mov_b32 s21, exec_lo
	s_delay_alu instid0(VALU_DEP_2) | instskip(NEXT) | instid1(VALU_DEP_2)
	v_cmp_gt_u32_e32 vcc_lo, 0x7a, v45
	v_or_b32_e32 v119, 0x800000, v118
	v_sub_nc_u32_e32 v3, 0x79, v45
	s_delay_alu instid0(VALU_DEP_1) | instskip(SKIP_1) | instid1(VALU_DEP_2)
	v_cndmask_b32_e32 v3, 0, v3, vcc_lo
	v_cmp_eq_u32_e32 vcc_lo, 0, v45
	v_cndmask_b32_e64 v46, v3, 0x78, vcc_lo
	v_cndmask_b32_e32 v118, v119, v118, vcc_lo
	s_delay_alu instid0(VALU_DEP_2) | instskip(SKIP_1) | instid1(VALU_DEP_2)
	v_dual_mov_b32 v119, v55 :: v_dual_add_nc_u32 v47, 19, v46
	v_add_nc_u32_e32 v2, 20, v46
	v_lshlrev_b64_e64 v[58:59], v47, 1
	s_delay_alu instid0(VALU_DEP_2) | instskip(NEXT) | instid1(VALU_DEP_1)
	v_lshlrev_b64_e64 v[2:3], v2, -1
	v_bfi_b32 v61, v3, 0, 0
	s_delay_alu instid0(VALU_DEP_2) | instskip(SKIP_1) | instid1(VALU_DEP_1)
	v_bfi_b32 v60, v2, 0, v118
	v_lshrrev_b64 v[2:3], v46, v[118:119]
	v_mov_b64_e32 v[118:119], v[2:3]
	s_delay_alu instid0(VALU_DEP_3)
	v_cmpx_eq_u64_e64 v[60:61], v[58:59]
; %bb.869:                              ;   in Loop: Header=BB2_569 Depth=2
	v_bfe_u32 v118, v2, 20, 1
	v_mov_b32_e32 v119, v55
	s_delay_alu instid0(VALU_DEP_1) | instskip(NEXT) | instid1(VALU_DEP_1)
	v_add_nc_u64_e32 v[118:119], v[2:3], v[118:119]
	v_add_nc_u64_e32 v[118:119], -1, v[118:119]
; %bb.870:                              ;   in Loop: Header=BB2_569 Depth=2
	s_or_b32 exec_lo, exec_lo, s21
	v_add_nc_u32_e32 v3, 0xffffff81, v45
	v_lshrrev_b32_e32 v119, 23, v2
	s_mov_b32 s8, exec_lo
	s_delay_alu instid0(VALU_DEP_2) | instskip(NEXT) | instid1(VALU_DEP_1)
	v_cndmask_b32_e64 v3, v3, 0xffffff82, vcc_lo
	v_add3_u32 v119, v46, v3, v119
	v_and_b32_e32 v3, 0xfffff, v118
                                        ; implicit-def: $vgpr118
	s_delay_alu instid0(VALU_DEP_1) | instskip(SKIP_1) | instid1(VALU_DEP_2)
	v_dual_add_nc_u32 v45, 6, v119 :: v_dual_add_nc_u32 v2, v3, v2
	v_mov_b32_e32 v3, v55
	v_cmpx_ne_u32_e32 0, v45
	s_xor_b32 s8, exec_lo, s8
; %bb.871:                              ;   in Loop: Header=BB2_569 Depth=2
	s_delay_alu instid0(VALU_DEP_2) | instskip(SKIP_2) | instid1(VALU_DEP_2)
	v_cmp_lt_u64_e32 vcc_lo, 0xffffff, v[2:3]
	v_add_nc_u32_e32 v118, 7, v119
	v_cndmask_b32_e64 v119, 0, 1, vcc_lo
	v_cndmask_b32_e32 v118, v45, v118, vcc_lo
	s_delay_alu instid0(VALU_DEP_2)
	v_lshrrev_b64 v[2:3], v119, v[2:3]
; %bb.872:                              ;   in Loop: Header=BB2_569 Depth=2
	s_and_not1_saveexec_b32 s8, s8
; %bb.873:                              ;   in Loop: Header=BB2_569 Depth=2
	s_delay_alu instid0(VALU_DEP_1)
	v_bfe_u32 v118, v2, 23, 1
; %bb.874:                              ;   in Loop: Header=BB2_569 Depth=2
	s_or_b32 exec_lo, exec_lo, s8
	s_delay_alu instid0(VALU_DEP_2) | instskip(NEXT) | instid1(VALU_DEP_2)
	v_lshrrev_b64 v[2:3], 20, v[2:3]
	v_cmp_gt_i32_e32 vcc_lo, 16, v118
	v_min_i32_e32 v119, 15, v118
	v_cmp_eq_u32_e64 s8, 0, v118
	s_delay_alu instid0(VALU_DEP_4) | instskip(NEXT) | instid1(VALU_DEP_3)
	v_cndmask_b32_e32 v3, 0, v3, vcc_lo
	v_dual_cndmask_b32 v2, 7, v2 :: v_dual_lshlrev_b32 v119, 3, v119
	s_delay_alu instid0(VALU_DEP_1) | instskip(NEXT) | instid1(VALU_DEP_2)
	v_and_b32_e32 v119, 0xf8, v119
	v_cmp_eq_u64_e32 vcc_lo, 0, v[2:3]
	s_delay_alu instid0(VALU_DEP_2)
	v_and_or_b32 v2, v2, 7, v119
	s_and_b32 s8, s8, vcc_lo
	s_delay_alu instid0(VALU_DEP_1) | instid1(SALU_CYCLE_1)
	v_cndmask_b32_e64 v2, v2, 0, s8
	s_delay_alu instid0(VALU_DEP_1)
	v_or_b32_e32 v45, v2, v5
.LBB2_875:                              ;   in Loop: Header=BB2_569 Depth=2
	s_or_b32 exec_lo, exec_lo, s20
                                        ; implicit-def: $vgpr5
.LBB2_876:                              ;   in Loop: Header=BB2_569 Depth=2
	s_and_not1_saveexec_b32 s8, s19
; %bb.877:                              ;   in Loop: Header=BB2_569 Depth=2
	v_or_b32_e32 v45, 0x7e, v5
; %bb.878:                              ;   in Loop: Header=BB2_569 Depth=2
	s_or_b32 exec_lo, exec_lo, s8
                                        ; implicit-def: $vgpr3
.LBB2_879:                              ;   in Loop: Header=BB2_569 Depth=2
	s_and_not1_saveexec_b32 s8, s18
; %bb.880:                              ;   in Loop: Header=BB2_569 Depth=2
	v_or_b32_e32 v45, 0x7f, v3
; %bb.881:                              ;   in Loop: Header=BB2_569 Depth=2
	s_or_b32 exec_lo, exec_lo, s8
	v_dual_lshrrev_b32 v118, 16, v4 :: v_dual_lshrrev_b32 v5, 16, v54
                                        ; implicit-def: $vgpr2
	s_delay_alu instid0(VALU_DEP_1) | instskip(NEXT) | instid1(VALU_DEP_1)
	v_and_b32_e32 v3, 0xff, v118
	v_cmp_ne_u16_e32 vcc_lo, 0, v3
	s_and_saveexec_b32 s8, s6
	s_delay_alu instid0(SALU_CYCLE_1)
	s_xor_b32 s18, exec_lo, s8
	s_cbranch_execz .LBB2_899
; %bb.882:                              ;   in Loop: Header=BB2_569 Depth=2
	v_dual_mov_b32 v46, 0 :: v_dual_mov_b32 v119, 0
	s_and_saveexec_b32 s19, vcc_lo
	s_cbranch_execz .LBB2_890
; %bb.883:                              ;   in Loop: Header=BB2_569 Depth=2
	v_bfrev_b32_e32 v119, 1
	s_mov_b32 s20, exec_lo
	v_cmpx_ne_u16_e32 0x80, v3
	s_cbranch_execz .LBB2_889
; %bb.884:                              ;   in Loop: Header=BB2_569 Depth=2
	v_bfe_u32 v47, v4, 16, 7
	v_mov_b32_e32 v119, 0x7f800001
	s_mov_b32 s21, exec_lo
	s_delay_alu instid0(VALU_DEP_2)
	v_cmpx_ne_u32_e32 0x7f, v47
	s_cbranch_execz .LBB2_888
; %bb.885:                              ;   in Loop: Header=BB2_569 Depth=2
	v_dual_mov_b32 v3, v55 :: v_dual_bitop2_b32 v2, 7, v118 bitop3:0x40
	v_lshrrev_b32_e32 v119, 3, v47
	s_mov_b32 s22, exec_lo
	v_cmpx_gt_u32_e32 8, v47
; %bb.886:                              ;   in Loop: Header=BB2_569 Depth=2
	s_delay_alu instid0(VALU_DEP_3) | instskip(NEXT) | instid1(VALU_DEP_1)
	v_clz_i32_u32_e32 v119, v2
	v_min_u32_e32 v119, 32, v119
	s_delay_alu instid0(VALU_DEP_1) | instskip(NEXT) | instid1(VALU_DEP_1)
	v_subrev_nc_u32_e32 v47, 28, v119
	v_lshlrev_b64_e32 v[2:3], v47, v[2:3]
	s_delay_alu instid0(VALU_DEP_1)
	v_dual_sub_nc_u32 v119, 29, v119 :: v_dual_bitop2_b32 v2, 7, v2 bitop3:0x40
; %bb.887:                              ;   in Loop: Header=BB2_569 Depth=2
	s_or_b32 exec_lo, exec_lo, s22
	v_lshlrev_b32_e32 v3, 24, v118
	s_delay_alu instid0(VALU_DEP_2) | instskip(NEXT) | instid1(VALU_DEP_3)
	v_lshlrev_b32_e32 v2, 20, v2
	v_lshl_add_u32 v118, v119, 23, 0x3c000000
	s_delay_alu instid0(VALU_DEP_3) | instskip(NEXT) | instid1(VALU_DEP_1)
	v_and_b32_e32 v3, 0x80000000, v3
	v_or3_b32 v119, v2, v3, v118
.LBB2_888:                              ;   in Loop: Header=BB2_569 Depth=2
	s_or_b32 exec_lo, exec_lo, s21
.LBB2_889:                              ;   in Loop: Header=BB2_569 Depth=2
	s_delay_alu instid0(SALU_CYCLE_1)
	s_or_b32 exec_lo, exec_lo, s20
.LBB2_890:                              ;   in Loop: Header=BB2_569 Depth=2
	s_delay_alu instid0(SALU_CYCLE_1) | instskip(SKIP_2) | instid1(VALU_DEP_1)
	s_or_b32 exec_lo, exec_lo, s19
	v_and_b32_e32 v2, 0xff, v5
	s_mov_b32 s19, exec_lo
	v_cmpx_ne_u16_e32 0, v2
	s_cbranch_execz .LBB2_898
; %bb.891:                              ;   in Loop: Header=BB2_569 Depth=2
	v_bfrev_b32_e32 v46, 1
	s_mov_b32 s20, exec_lo
	v_cmpx_ne_u16_e32 0x80, v2
	s_cbranch_execz .LBB2_897
; %bb.892:                              ;   in Loop: Header=BB2_569 Depth=2
	v_bfe_u32 v47, v54, 16, 7
	v_mov_b32_e32 v46, 0x7f800001
	s_mov_b32 s21, exec_lo
	s_delay_alu instid0(VALU_DEP_2)
	v_cmpx_ne_u32_e32 0x7f, v47
	s_cbranch_execz .LBB2_896
; %bb.893:                              ;   in Loop: Header=BB2_569 Depth=2
	v_dual_mov_b32 v3, v55 :: v_dual_bitop2_b32 v2, 7, v5 bitop3:0x40
	v_lshrrev_b32_e32 v118, 3, v47
	s_mov_b32 s22, exec_lo
	v_cmpx_gt_u32_e32 8, v47
; %bb.894:                              ;   in Loop: Header=BB2_569 Depth=2
	s_delay_alu instid0(VALU_DEP_3) | instskip(NEXT) | instid1(VALU_DEP_1)
	v_clz_i32_u32_e32 v118, v2
	v_min_u32_e32 v118, 32, v118
	s_delay_alu instid0(VALU_DEP_1) | instskip(SKIP_1) | instid1(VALU_DEP_2)
	v_subrev_nc_u32_e32 v46, 28, v118
	v_sub_nc_u32_e32 v118, 29, v118
	v_lshlrev_b64_e32 v[2:3], v46, v[2:3]
	s_delay_alu instid0(VALU_DEP_1)
	v_and_b32_e32 v2, 7, v2
; %bb.895:                              ;   in Loop: Header=BB2_569 Depth=2
	s_or_b32 exec_lo, exec_lo, s22
	s_delay_alu instid0(VALU_DEP_1) | instskip(SKIP_1) | instid1(VALU_DEP_2)
	v_dual_lshlrev_b32 v3, 24, v5 :: v_dual_lshlrev_b32 v2, 20, v2
	v_lshl_add_u32 v5, v118, 23, 0x3c000000
	v_and_b32_e32 v3, 0x80000000, v3
	s_delay_alu instid0(VALU_DEP_1)
	v_or3_b32 v46, v2, v3, v5
.LBB2_896:                              ;   in Loop: Header=BB2_569 Depth=2
	s_or_b32 exec_lo, exec_lo, s21
.LBB2_897:                              ;   in Loop: Header=BB2_569 Depth=2
	s_delay_alu instid0(SALU_CYCLE_1)
	s_or_b32 exec_lo, exec_lo, s20
.LBB2_898:                              ;   in Loop: Header=BB2_569 Depth=2
	s_delay_alu instid0(SALU_CYCLE_1) | instskip(NEXT) | instid1(VALU_DEP_1)
	s_or_b32 exec_lo, exec_lo, s19
	v_dual_max_num_f32 v2, v46, v46 :: v_dual_max_num_f32 v3, v119, v119
                                        ; implicit-def: $vgpr5
                                        ; implicit-def: $vgpr118
	s_delay_alu instid0(VALU_DEP_1)
	v_max_num_f32_e32 v2, v3, v2
                                        ; implicit-def: $vgpr3
.LBB2_899:                              ;   in Loop: Header=BB2_569 Depth=2
	s_and_not1_saveexec_b32 s8, s18
	s_cbranch_execz .LBB2_917
; %bb.900:                              ;   in Loop: Header=BB2_569 Depth=2
	v_dual_mov_b32 v46, 0 :: v_dual_mov_b32 v119, 0
	s_and_saveexec_b32 s18, vcc_lo
	s_cbranch_execz .LBB2_908
; %bb.901:                              ;   in Loop: Header=BB2_569 Depth=2
	v_bfrev_b32_e32 v119, 1
	s_mov_b32 s19, exec_lo
	v_cmpx_ne_u16_e32 0x80, v3
	s_cbranch_execz .LBB2_907
; %bb.902:                              ;   in Loop: Header=BB2_569 Depth=2
	v_bfe_u32 v47, v4, 16, 7
	v_mov_b32_e32 v119, 0x7f800001
	s_mov_b32 s20, exec_lo
	s_delay_alu instid0(VALU_DEP_2)
	v_cmpx_ne_u32_e32 0x7f, v47
	s_cbranch_execz .LBB2_906
; %bb.903:                              ;   in Loop: Header=BB2_569 Depth=2
	v_dual_mov_b32 v3, v55 :: v_dual_bitop2_b32 v2, 7, v118 bitop3:0x40
	v_lshrrev_b32_e32 v119, 3, v47
	s_mov_b32 s21, exec_lo
	v_cmpx_gt_u32_e32 8, v47
; %bb.904:                              ;   in Loop: Header=BB2_569 Depth=2
	s_delay_alu instid0(VALU_DEP_3) | instskip(NEXT) | instid1(VALU_DEP_1)
	v_clz_i32_u32_e32 v119, v2
	v_min_u32_e32 v119, 32, v119
	s_delay_alu instid0(VALU_DEP_1) | instskip(NEXT) | instid1(VALU_DEP_1)
	v_subrev_nc_u32_e32 v47, 28, v119
	v_lshlrev_b64_e32 v[2:3], v47, v[2:3]
	s_delay_alu instid0(VALU_DEP_1)
	v_dual_sub_nc_u32 v119, 29, v119 :: v_dual_bitop2_b32 v2, 7, v2 bitop3:0x40
; %bb.905:                              ;   in Loop: Header=BB2_569 Depth=2
	s_or_b32 exec_lo, exec_lo, s21
	v_lshlrev_b32_e32 v3, 24, v118
	s_delay_alu instid0(VALU_DEP_2) | instskip(NEXT) | instid1(VALU_DEP_3)
	v_lshlrev_b32_e32 v2, 20, v2
	v_lshl_add_u32 v118, v119, 23, 0x3c000000
	s_delay_alu instid0(VALU_DEP_3) | instskip(NEXT) | instid1(VALU_DEP_1)
	v_and_b32_e32 v3, 0x80000000, v3
	v_or3_b32 v119, v2, v3, v118
.LBB2_906:                              ;   in Loop: Header=BB2_569 Depth=2
	s_or_b32 exec_lo, exec_lo, s20
.LBB2_907:                              ;   in Loop: Header=BB2_569 Depth=2
	s_delay_alu instid0(SALU_CYCLE_1)
	s_or_b32 exec_lo, exec_lo, s19
.LBB2_908:                              ;   in Loop: Header=BB2_569 Depth=2
	s_delay_alu instid0(SALU_CYCLE_1) | instskip(SKIP_2) | instid1(VALU_DEP_1)
	s_or_b32 exec_lo, exec_lo, s18
	v_and_b32_e32 v2, 0xff, v5
	s_mov_b32 s18, exec_lo
	v_cmpx_ne_u16_e32 0, v2
	s_cbranch_execz .LBB2_916
; %bb.909:                              ;   in Loop: Header=BB2_569 Depth=2
	v_bfrev_b32_e32 v46, 1
	s_mov_b32 s19, exec_lo
	v_cmpx_ne_u16_e32 0x80, v2
	s_cbranch_execz .LBB2_915
; %bb.910:                              ;   in Loop: Header=BB2_569 Depth=2
	v_bfe_u32 v47, v54, 16, 7
	v_mov_b32_e32 v46, 0x7f800001
	s_mov_b32 s20, exec_lo
	s_delay_alu instid0(VALU_DEP_2)
	v_cmpx_ne_u32_e32 0x7f, v47
	s_cbranch_execz .LBB2_914
; %bb.911:                              ;   in Loop: Header=BB2_569 Depth=2
	v_dual_mov_b32 v3, v55 :: v_dual_bitop2_b32 v2, 7, v5 bitop3:0x40
	v_lshrrev_b32_e32 v118, 3, v47
	s_mov_b32 s21, exec_lo
	v_cmpx_gt_u32_e32 8, v47
; %bb.912:                              ;   in Loop: Header=BB2_569 Depth=2
	s_delay_alu instid0(VALU_DEP_3) | instskip(NEXT) | instid1(VALU_DEP_1)
	v_clz_i32_u32_e32 v118, v2
	v_min_u32_e32 v118, 32, v118
	s_delay_alu instid0(VALU_DEP_1) | instskip(SKIP_1) | instid1(VALU_DEP_2)
	v_subrev_nc_u32_e32 v46, 28, v118
	v_sub_nc_u32_e32 v118, 29, v118
	v_lshlrev_b64_e32 v[2:3], v46, v[2:3]
	s_delay_alu instid0(VALU_DEP_1)
	v_and_b32_e32 v2, 7, v2
; %bb.913:                              ;   in Loop: Header=BB2_569 Depth=2
	s_or_b32 exec_lo, exec_lo, s21
	s_delay_alu instid0(VALU_DEP_1) | instskip(SKIP_1) | instid1(VALU_DEP_2)
	v_dual_lshlrev_b32 v3, 24, v5 :: v_dual_lshlrev_b32 v2, 20, v2
	v_lshl_add_u32 v5, v118, 23, 0x3c000000
	v_and_b32_e32 v3, 0x80000000, v3
	s_delay_alu instid0(VALU_DEP_1)
	v_or3_b32 v46, v2, v3, v5
.LBB2_914:                              ;   in Loop: Header=BB2_569 Depth=2
	s_or_b32 exec_lo, exec_lo, s20
.LBB2_915:                              ;   in Loop: Header=BB2_569 Depth=2
	s_delay_alu instid0(SALU_CYCLE_1)
	s_or_b32 exec_lo, exec_lo, s19
.LBB2_916:                              ;   in Loop: Header=BB2_569 Depth=2
	s_delay_alu instid0(SALU_CYCLE_1) | instskip(NEXT) | instid1(VALU_DEP_1)
	s_or_b32 exec_lo, exec_lo, s18
	v_dual_max_num_f32 v2, v46, v46 :: v_dual_max_num_f32 v3, v119, v119
	s_delay_alu instid0(VALU_DEP_1)
	v_min_num_f32_e32 v2, v3, v2
.LBB2_917:                              ;   in Loop: Header=BB2_569 Depth=2
	s_or_b32 exec_lo, exec_lo, s8
	s_delay_alu instid0(VALU_DEP_1) | instskip(SKIP_1) | instid1(VALU_DEP_1)
	v_and_b32_e32 v118, 0x7f800000, v2
	v_dual_mov_b32 v119, v55 :: v_dual_lshrrev_b32 v3, 24, v2
	v_cmp_ne_u64_e32 vcc_lo, 0x7f800000, v[118:119]
                                        ; implicit-def: $vgpr118
	s_and_saveexec_b32 s8, vcc_lo
	s_delay_alu instid0(SALU_CYCLE_1)
	s_xor_b32 s18, exec_lo, s8
	s_cbranch_execz .LBB2_931
; %bb.918:                              ;   in Loop: Header=BB2_569 Depth=2
	v_and_b32_e32 v118, 0x7fffffff, v2
	v_mov_b32_e32 v119, v55
	v_and_b32_e32 v5, 0x80, v3
	s_delay_alu instid0(VALU_DEP_2) | instskip(SKIP_1) | instid1(SALU_CYCLE_1)
	v_cmp_gt_u64_e32 vcc_lo, 0x43e00001, v[118:119]
                                        ; implicit-def: $vgpr118
	s_and_saveexec_b32 s8, vcc_lo
	s_xor_b32 s19, exec_lo, s8
	s_cbranch_execz .LBB2_928
; %bb.919:                              ;   in Loop: Header=BB2_569 Depth=2
	v_mov_b32_e32 v118, 0
	s_mov_b32 s20, exec_lo
	v_cmpx_ne_u32_e32 0, v2
	s_cbranch_execz .LBB2_927
; %bb.920:                              ;   in Loop: Header=BB2_569 Depth=2
	v_bfe_u32 v46, v2, 23, 8
	v_and_b32_e32 v118, 0x7fffff, v2
	s_mov_b32 s21, exec_lo
	s_delay_alu instid0(VALU_DEP_2) | instskip(SKIP_1) | instid1(VALU_DEP_3)
	v_sub_nc_u32_e32 v3, 0x79, v46
	v_cmp_gt_u32_e32 vcc_lo, 0x7a, v46
	v_or_b32_e32 v119, 0x800000, v118
	s_delay_alu instid0(VALU_DEP_3) | instskip(SKIP_1) | instid1(VALU_DEP_3)
	v_cndmask_b32_e32 v3, 0, v3, vcc_lo
	v_cmp_eq_u32_e32 vcc_lo, 0, v46
	v_cndmask_b32_e32 v118, v119, v118, vcc_lo
	s_delay_alu instid0(VALU_DEP_3) | instskip(NEXT) | instid1(VALU_DEP_1)
	v_cndmask_b32_e64 v47, v3, 0x78, vcc_lo
	v_dual_mov_b32 v119, v55 :: v_dual_add_nc_u32 v2, 20, v47
	v_add_nc_u32_e32 v58, 19, v47
	s_delay_alu instid0(VALU_DEP_2) | instskip(NEXT) | instid1(VALU_DEP_2)
	v_lshlrev_b64_e64 v[2:3], v2, -1
	v_lshlrev_b64_e64 v[58:59], v58, 1
	s_delay_alu instid0(VALU_DEP_2) | instskip(NEXT) | instid1(VALU_DEP_3)
	v_bfi_b32 v61, v3, 0, 0
	v_bfi_b32 v60, v2, 0, v118
	v_lshrrev_b64 v[2:3], v47, v[118:119]
	s_delay_alu instid0(VALU_DEP_1) | instskip(NEXT) | instid1(VALU_DEP_3)
	v_mov_b64_e32 v[118:119], v[2:3]
	v_cmpx_eq_u64_e64 v[60:61], v[58:59]
; %bb.921:                              ;   in Loop: Header=BB2_569 Depth=2
	v_bfe_u32 v118, v2, 20, 1
	v_mov_b32_e32 v119, v55
	s_delay_alu instid0(VALU_DEP_1) | instskip(NEXT) | instid1(VALU_DEP_1)
	v_add_nc_u64_e32 v[118:119], v[2:3], v[118:119]
	v_add_nc_u64_e32 v[118:119], -1, v[118:119]
; %bb.922:                              ;   in Loop: Header=BB2_569 Depth=2
	s_or_b32 exec_lo, exec_lo, s21
	v_add_nc_u32_e32 v3, 0xffffff81, v46
	v_lshrrev_b32_e32 v119, 23, v2
	s_mov_b32 s8, exec_lo
	s_delay_alu instid0(VALU_DEP_2) | instskip(NEXT) | instid1(VALU_DEP_1)
	v_cndmask_b32_e64 v3, v3, 0xffffff82, vcc_lo
	v_add3_u32 v119, v47, v3, v119
	v_and_b32_e32 v3, 0xfffff, v118
                                        ; implicit-def: $vgpr118
	s_delay_alu instid0(VALU_DEP_1) | instskip(SKIP_1) | instid1(VALU_DEP_2)
	v_dual_add_nc_u32 v46, 6, v119 :: v_dual_add_nc_u32 v2, v3, v2
	v_mov_b32_e32 v3, v55
	v_cmpx_ne_u32_e32 0, v46
	s_xor_b32 s8, exec_lo, s8
; %bb.923:                              ;   in Loop: Header=BB2_569 Depth=2
	s_delay_alu instid0(VALU_DEP_2) | instskip(SKIP_2) | instid1(VALU_DEP_2)
	v_cmp_lt_u64_e32 vcc_lo, 0xffffff, v[2:3]
	v_add_nc_u32_e32 v118, 7, v119
	v_cndmask_b32_e64 v119, 0, 1, vcc_lo
	v_cndmask_b32_e32 v118, v46, v118, vcc_lo
	s_delay_alu instid0(VALU_DEP_2)
	v_lshrrev_b64 v[2:3], v119, v[2:3]
; %bb.924:                              ;   in Loop: Header=BB2_569 Depth=2
	s_and_not1_saveexec_b32 s8, s8
; %bb.925:                              ;   in Loop: Header=BB2_569 Depth=2
	s_delay_alu instid0(VALU_DEP_1)
	v_bfe_u32 v118, v2, 23, 1
; %bb.926:                              ;   in Loop: Header=BB2_569 Depth=2
	s_or_b32 exec_lo, exec_lo, s8
	s_delay_alu instid0(VALU_DEP_2) | instskip(NEXT) | instid1(VALU_DEP_2)
	v_lshrrev_b64 v[2:3], 20, v[2:3]
	v_cmp_gt_i32_e32 vcc_lo, 16, v118
	v_min_i32_e32 v119, 15, v118
	v_cmp_eq_u32_e64 s8, 0, v118
	s_delay_alu instid0(VALU_DEP_4) | instskip(NEXT) | instid1(VALU_DEP_3)
	v_cndmask_b32_e32 v3, 0, v3, vcc_lo
	v_dual_cndmask_b32 v2, 7, v2 :: v_dual_lshlrev_b32 v119, 3, v119
	s_delay_alu instid0(VALU_DEP_1) | instskip(NEXT) | instid1(VALU_DEP_2)
	v_and_b32_e32 v119, 0xf8, v119
	v_cmp_eq_u64_e32 vcc_lo, 0, v[2:3]
	s_delay_alu instid0(VALU_DEP_2)
	v_and_or_b32 v2, v2, 7, v119
	s_and_b32 s8, s8, vcc_lo
	s_delay_alu instid0(VALU_DEP_1) | instid1(SALU_CYCLE_1)
	v_cndmask_b32_e64 v2, v2, 0, s8
	s_delay_alu instid0(VALU_DEP_1)
	v_or_b32_e32 v118, v2, v5
.LBB2_927:                              ;   in Loop: Header=BB2_569 Depth=2
	s_or_b32 exec_lo, exec_lo, s20
                                        ; implicit-def: $vgpr5
.LBB2_928:                              ;   in Loop: Header=BB2_569 Depth=2
	s_and_not1_saveexec_b32 s8, s19
; %bb.929:                              ;   in Loop: Header=BB2_569 Depth=2
	v_or_b32_e32 v118, 0x7e, v5
; %bb.930:                              ;   in Loop: Header=BB2_569 Depth=2
	s_or_b32 exec_lo, exec_lo, s8
                                        ; implicit-def: $vgpr3
.LBB2_931:                              ;   in Loop: Header=BB2_569 Depth=2
	s_and_not1_saveexec_b32 s8, s18
; %bb.932:                              ;   in Loop: Header=BB2_569 Depth=2
	v_or_b32_e32 v118, 0x7f, v3
; %bb.933:                              ;   in Loop: Header=BB2_569 Depth=2
	s_or_b32 exec_lo, exec_lo, s8
	v_and_b32_e32 v2, 0xff000000, v4
	v_dual_mov_b32 v3, v55 :: v_dual_lshrrev_b32 v46, 24, v4
	v_lshrrev_b32_e32 v119, 24, v54
	s_delay_alu instid0(VALU_DEP_2) | instskip(SKIP_1) | instid1(SALU_CYCLE_1)
	v_cmp_ne_u64_e32 vcc_lo, 0, v[2:3]
                                        ; implicit-def: $vgpr2
	s_and_saveexec_b32 s8, s6
	s_xor_b32 s18, exec_lo, s8
	s_cbranch_execz .LBB2_951
; %bb.934:                              ;   in Loop: Header=BB2_569 Depth=2
	v_dual_mov_b32 v5, 0 :: v_dual_mov_b32 v2, 0
	s_and_saveexec_b32 s19, vcc_lo
	s_cbranch_execz .LBB2_942
; %bb.935:                              ;   in Loop: Header=BB2_569 Depth=2
	v_bfrev_b32_e32 v2, 1
	s_mov_b32 s20, exec_lo
	v_cmpx_ne_u32_e32 0x80, v46
	s_cbranch_execz .LBB2_941
; %bb.936:                              ;   in Loop: Header=BB2_569 Depth=2
	v_bfe_u32 v47, v4, 24, 7
	v_mov_b32_e32 v2, 0x7f800001
	s_mov_b32 s21, exec_lo
	s_delay_alu instid0(VALU_DEP_2)
	v_cmpx_ne_u32_e32 0x7f, v47
	s_cbranch_execz .LBB2_940
; %bb.937:                              ;   in Loop: Header=BB2_569 Depth=2
	v_dual_mov_b32 v3, v55 :: v_dual_bitop2_b32 v2, 7, v46 bitop3:0x40
	v_lshrrev_b32_e32 v4, 3, v47
	s_mov_b32 s22, exec_lo
	v_cmpx_gt_u32_e32 8, v47
; %bb.938:                              ;   in Loop: Header=BB2_569 Depth=2
	s_delay_alu instid0(VALU_DEP_3) | instskip(NEXT) | instid1(VALU_DEP_1)
	v_clz_i32_u32_e32 v4, v2
	v_min_u32_e32 v4, 32, v4
	s_delay_alu instid0(VALU_DEP_1) | instskip(NEXT) | instid1(VALU_DEP_1)
	v_subrev_nc_u32_e32 v47, 28, v4
	v_lshlrev_b64_e32 v[2:3], v47, v[2:3]
	s_delay_alu instid0(VALU_DEP_1)
	v_dual_sub_nc_u32 v4, 29, v4 :: v_dual_bitop2_b32 v2, 7, v2 bitop3:0x40
; %bb.939:                              ;   in Loop: Header=BB2_569 Depth=2
	s_or_b32 exec_lo, exec_lo, s22
	v_lshlrev_b32_e32 v3, 24, v46
	s_delay_alu instid0(VALU_DEP_2) | instskip(NEXT) | instid1(VALU_DEP_3)
	v_lshlrev_b32_e32 v2, 20, v2
	v_lshl_add_u32 v4, v4, 23, 0x3c000000
	s_delay_alu instid0(VALU_DEP_3) | instskip(NEXT) | instid1(VALU_DEP_1)
	v_and_b32_e32 v3, 0x80000000, v3
	v_or3_b32 v2, v2, v3, v4
.LBB2_940:                              ;   in Loop: Header=BB2_569 Depth=2
	s_or_b32 exec_lo, exec_lo, s21
.LBB2_941:                              ;   in Loop: Header=BB2_569 Depth=2
	s_delay_alu instid0(SALU_CYCLE_1)
	s_or_b32 exec_lo, exec_lo, s20
.LBB2_942:                              ;   in Loop: Header=BB2_569 Depth=2
	s_delay_alu instid0(SALU_CYCLE_1) | instskip(NEXT) | instid1(SALU_CYCLE_1)
	s_or_b32 exec_lo, exec_lo, s19
	s_mov_b32 s19, exec_lo
	v_cmpx_lt_u32_e32 0xffffff, v54
	s_cbranch_execz .LBB2_950
; %bb.943:                              ;   in Loop: Header=BB2_569 Depth=2
	v_bfrev_b32_e32 v5, 1
	s_mov_b32 s20, exec_lo
	v_cmpx_ne_u32_e32 0x80, v119
	s_cbranch_execz .LBB2_949
; %bb.944:                              ;   in Loop: Header=BB2_569 Depth=2
	v_bfe_u32 v4, v54, 24, 7
	v_mov_b32_e32 v5, 0x7f800001
	s_mov_b32 s21, exec_lo
	s_delay_alu instid0(VALU_DEP_2)
	v_cmpx_ne_u32_e32 0x7f, v4
	s_cbranch_execz .LBB2_948
; %bb.945:                              ;   in Loop: Header=BB2_569 Depth=2
	v_dual_lshrrev_b32 v3, 3, v4 :: v_dual_bitop2_b32 v54, 7, v119 bitop3:0x40
	s_mov_b32 s22, exec_lo
	v_cmpx_gt_u32_e32 8, v4
; %bb.946:                              ;   in Loop: Header=BB2_569 Depth=2
	s_delay_alu instid0(VALU_DEP_2) | instskip(NEXT) | instid1(VALU_DEP_1)
	v_clz_i32_u32_e32 v3, v54
	v_min_u32_e32 v3, 32, v3
	s_delay_alu instid0(VALU_DEP_1) | instskip(NEXT) | instid1(VALU_DEP_1)
	v_subrev_nc_u32_e32 v4, 28, v3
	v_lshlrev_b64_e32 v[4:5], v4, v[54:55]
	s_delay_alu instid0(VALU_DEP_1)
	v_dual_sub_nc_u32 v3, 29, v3 :: v_dual_bitop2_b32 v54, 7, v4 bitop3:0x40
; %bb.947:                              ;   in Loop: Header=BB2_569 Depth=2
	s_or_b32 exec_lo, exec_lo, s22
	s_delay_alu instid0(VALU_DEP_1) | instskip(NEXT) | instid1(VALU_DEP_2)
	v_dual_lshlrev_b32 v4, 24, v119 :: v_dual_lshlrev_b32 v5, 20, v54
	v_lshl_add_u32 v3, v3, 23, 0x3c000000
	s_delay_alu instid0(VALU_DEP_2) | instskip(NEXT) | instid1(VALU_DEP_1)
	v_and_b32_e32 v4, 0x80000000, v4
	v_or3_b32 v5, v5, v4, v3
.LBB2_948:                              ;   in Loop: Header=BB2_569 Depth=2
	s_or_b32 exec_lo, exec_lo, s21
.LBB2_949:                              ;   in Loop: Header=BB2_569 Depth=2
	s_delay_alu instid0(SALU_CYCLE_1)
	s_or_b32 exec_lo, exec_lo, s20
.LBB2_950:                              ;   in Loop: Header=BB2_569 Depth=2
	s_delay_alu instid0(SALU_CYCLE_1) | instskip(NEXT) | instid1(VALU_DEP_1)
	s_or_b32 exec_lo, exec_lo, s19
	v_dual_max_num_f32 v3, v5, v5 :: v_dual_max_num_f32 v2, v2, v2
                                        ; implicit-def: $vgpr119
                                        ; implicit-def: $vgpr46
                                        ; implicit-def: $vgpr4_vgpr5
	s_delay_alu instid0(VALU_DEP_1)
	v_max_num_f32_e32 v2, v2, v3
.LBB2_951:                              ;   in Loop: Header=BB2_569 Depth=2
	s_and_not1_saveexec_b32 s8, s18
	s_cbranch_execz .LBB2_969
; %bb.952:                              ;   in Loop: Header=BB2_569 Depth=2
	v_dual_mov_b32 v5, 0 :: v_dual_mov_b32 v2, 0
	s_and_saveexec_b32 s18, vcc_lo
	s_cbranch_execz .LBB2_960
; %bb.953:                              ;   in Loop: Header=BB2_569 Depth=2
	v_bfrev_b32_e32 v2, 1
	s_mov_b32 s19, exec_lo
	v_cmpx_ne_u32_e32 0x80, v46
	s_cbranch_execz .LBB2_959
; %bb.954:                              ;   in Loop: Header=BB2_569 Depth=2
	v_bfe_u32 v47, v4, 24, 7
	v_mov_b32_e32 v2, 0x7f800001
	s_mov_b32 s20, exec_lo
	s_delay_alu instid0(VALU_DEP_2)
	v_cmpx_ne_u32_e32 0x7f, v47
	s_cbranch_execz .LBB2_958
; %bb.955:                              ;   in Loop: Header=BB2_569 Depth=2
	v_dual_mov_b32 v3, v55 :: v_dual_bitop2_b32 v2, 7, v46 bitop3:0x40
	v_lshrrev_b32_e32 v4, 3, v47
	s_mov_b32 s21, exec_lo
	v_cmpx_gt_u32_e32 8, v47
; %bb.956:                              ;   in Loop: Header=BB2_569 Depth=2
	s_delay_alu instid0(VALU_DEP_3) | instskip(NEXT) | instid1(VALU_DEP_1)
	v_clz_i32_u32_e32 v4, v2
	v_min_u32_e32 v4, 32, v4
	s_delay_alu instid0(VALU_DEP_1) | instskip(NEXT) | instid1(VALU_DEP_1)
	v_subrev_nc_u32_e32 v47, 28, v4
	v_lshlrev_b64_e32 v[2:3], v47, v[2:3]
	s_delay_alu instid0(VALU_DEP_1)
	v_dual_sub_nc_u32 v4, 29, v4 :: v_dual_bitop2_b32 v2, 7, v2 bitop3:0x40
; %bb.957:                              ;   in Loop: Header=BB2_569 Depth=2
	s_or_b32 exec_lo, exec_lo, s21
	v_lshlrev_b32_e32 v3, 24, v46
	s_delay_alu instid0(VALU_DEP_2) | instskip(NEXT) | instid1(VALU_DEP_3)
	v_lshlrev_b32_e32 v2, 20, v2
	v_lshl_add_u32 v4, v4, 23, 0x3c000000
	s_delay_alu instid0(VALU_DEP_3) | instskip(NEXT) | instid1(VALU_DEP_1)
	v_and_b32_e32 v3, 0x80000000, v3
	v_or3_b32 v2, v2, v3, v4
.LBB2_958:                              ;   in Loop: Header=BB2_569 Depth=2
	s_or_b32 exec_lo, exec_lo, s20
.LBB2_959:                              ;   in Loop: Header=BB2_569 Depth=2
	s_delay_alu instid0(SALU_CYCLE_1)
	s_or_b32 exec_lo, exec_lo, s19
.LBB2_960:                              ;   in Loop: Header=BB2_569 Depth=2
	s_delay_alu instid0(SALU_CYCLE_1) | instskip(NEXT) | instid1(SALU_CYCLE_1)
	s_or_b32 exec_lo, exec_lo, s18
	s_mov_b32 s18, exec_lo
	v_cmpx_lt_u32_e32 0xffffff, v54
	s_cbranch_execz .LBB2_968
; %bb.961:                              ;   in Loop: Header=BB2_569 Depth=2
	v_bfrev_b32_e32 v5, 1
	s_mov_b32 s19, exec_lo
	v_cmpx_ne_u32_e32 0x80, v119
	s_cbranch_execz .LBB2_967
; %bb.962:                              ;   in Loop: Header=BB2_569 Depth=2
	v_bfe_u32 v4, v54, 24, 7
	v_mov_b32_e32 v5, 0x7f800001
	s_mov_b32 s20, exec_lo
	s_delay_alu instid0(VALU_DEP_2)
	v_cmpx_ne_u32_e32 0x7f, v4
	s_cbranch_execz .LBB2_966
; %bb.963:                              ;   in Loop: Header=BB2_569 Depth=2
	v_dual_lshrrev_b32 v3, 3, v4 :: v_dual_bitop2_b32 v54, 7, v119 bitop3:0x40
	s_mov_b32 s21, exec_lo
	v_cmpx_gt_u32_e32 8, v4
; %bb.964:                              ;   in Loop: Header=BB2_569 Depth=2
	s_delay_alu instid0(VALU_DEP_2) | instskip(NEXT) | instid1(VALU_DEP_1)
	v_clz_i32_u32_e32 v3, v54
	v_min_u32_e32 v3, 32, v3
	s_delay_alu instid0(VALU_DEP_1) | instskip(NEXT) | instid1(VALU_DEP_1)
	v_subrev_nc_u32_e32 v4, 28, v3
	v_lshlrev_b64_e32 v[4:5], v4, v[54:55]
	s_delay_alu instid0(VALU_DEP_1)
	v_dual_sub_nc_u32 v3, 29, v3 :: v_dual_bitop2_b32 v54, 7, v4 bitop3:0x40
; %bb.965:                              ;   in Loop: Header=BB2_569 Depth=2
	s_or_b32 exec_lo, exec_lo, s21
	s_delay_alu instid0(VALU_DEP_1) | instskip(NEXT) | instid1(VALU_DEP_2)
	v_dual_lshlrev_b32 v4, 24, v119 :: v_dual_lshlrev_b32 v5, 20, v54
	v_lshl_add_u32 v3, v3, 23, 0x3c000000
	s_delay_alu instid0(VALU_DEP_2) | instskip(NEXT) | instid1(VALU_DEP_1)
	v_and_b32_e32 v4, 0x80000000, v4
	v_or3_b32 v5, v5, v4, v3
.LBB2_966:                              ;   in Loop: Header=BB2_569 Depth=2
	s_or_b32 exec_lo, exec_lo, s20
.LBB2_967:                              ;   in Loop: Header=BB2_569 Depth=2
	s_delay_alu instid0(SALU_CYCLE_1)
	s_or_b32 exec_lo, exec_lo, s19
.LBB2_968:                              ;   in Loop: Header=BB2_569 Depth=2
	s_delay_alu instid0(SALU_CYCLE_1) | instskip(NEXT) | instid1(VALU_DEP_1)
	s_or_b32 exec_lo, exec_lo, s18
	v_dual_max_num_f32 v3, v5, v5 :: v_dual_max_num_f32 v2, v2, v2
	s_delay_alu instid0(VALU_DEP_1)
	v_min_num_f32_e32 v2, v2, v3
.LBB2_969:                              ;   in Loop: Header=BB2_569 Depth=2
	s_or_b32 exec_lo, exec_lo, s8
	s_delay_alu instid0(VALU_DEP_1) | instskip(SKIP_2) | instid1(VALU_DEP_2)
	v_and_b32_e32 v54, 0x7f800000, v2
	v_lshrrev_b32_e32 v4, 24, v2
                                        ; implicit-def: $vgpr3
	s_mov_b32 s8, exec_lo
	v_cmpx_ne_u64_e32 0x7f800000, v[54:55]
	s_xor_b32 s18, exec_lo, s8
	s_cbranch_execz .LBB2_983
; %bb.970:                              ;   in Loop: Header=BB2_569 Depth=2
	v_and_b32_e32 v54, 0x7fffffff, v2
	v_and_b32_e32 v119, 0x80, v4
                                        ; implicit-def: $vgpr3
	s_mov_b32 s8, exec_lo
	s_delay_alu instid0(VALU_DEP_2)
	v_cmpx_gt_u64_e32 0x43e00001, v[54:55]
	s_xor_b32 s19, exec_lo, s8
	s_cbranch_execz .LBB2_980
; %bb.971:                              ;   in Loop: Header=BB2_569 Depth=2
	v_mov_b32_e32 v3, 0
	s_mov_b32 s20, exec_lo
	v_cmpx_ne_u32_e32 0, v2
	s_cbranch_execz .LBB2_979
; %bb.972:                              ;   in Loop: Header=BB2_569 Depth=2
	v_bfe_u32 v46, v2, 23, 8
	v_and_b32_e32 v4, 0x7fffff, v2
	s_delay_alu instid0(VALU_DEP_2) | instskip(NEXT) | instid1(VALU_DEP_2)
	v_cmp_gt_u32_e32 vcc_lo, 0x7a, v46
	v_or_b32_e32 v5, 0x800000, v4
	v_sub_nc_u32_e32 v3, 0x79, v46
	s_delay_alu instid0(VALU_DEP_1) | instskip(SKIP_1) | instid1(VALU_DEP_2)
	v_cndmask_b32_e32 v3, 0, v3, vcc_lo
	v_cmp_eq_u32_e32 vcc_lo, 0, v46
	v_cndmask_b32_e64 v47, v3, 0x78, vcc_lo
	s_delay_alu instid0(VALU_DEP_1) | instskip(SKIP_1) | instid1(VALU_DEP_2)
	v_dual_cndmask_b32 v54, v5, v4, vcc_lo :: v_dual_add_nc_u32 v2, 20, v47
	v_add_nc_u32_e32 v58, 19, v47
	v_lshlrev_b64_e64 v[2:3], v2, -1
	s_delay_alu instid0(VALU_DEP_2) | instskip(NEXT) | instid1(VALU_DEP_2)
	v_lshlrev_b64_e64 v[4:5], v58, 1
	v_bfi_b32 v59, v3, 0, 0
	s_delay_alu instid0(VALU_DEP_3) | instskip(SKIP_1) | instid1(VALU_DEP_2)
	v_bfi_b32 v58, v2, 0, v54
	v_lshrrev_b64 v[2:3], v47, v[54:55]
	v_cmp_eq_u64_e64 s8, v[58:59], v[4:5]
	s_delay_alu instid0(VALU_DEP_2)
	v_mov_b64_e32 v[4:5], v[2:3]
	s_and_saveexec_b32 s21, s8
; %bb.973:                              ;   in Loop: Header=BB2_569 Depth=2
	v_bfe_u32 v54, v2, 20, 1
	s_delay_alu instid0(VALU_DEP_1) | instskip(NEXT) | instid1(VALU_DEP_1)
	v_add_nc_u64_e32 v[4:5], v[2:3], v[54:55]
	v_add_nc_u64_e32 v[4:5], -1, v[4:5]
; %bb.974:                              ;   in Loop: Header=BB2_569 Depth=2
	s_or_b32 exec_lo, exec_lo, s21
	v_add_nc_u32_e32 v3, 0xffffff81, v46
	v_lshrrev_b32_e32 v5, 23, v2
	s_mov_b32 s8, exec_lo
	s_delay_alu instid0(VALU_DEP_2) | instskip(NEXT) | instid1(VALU_DEP_1)
	v_cndmask_b32_e64 v3, v3, 0xffffff82, vcc_lo
	v_add3_u32 v5, v47, v3, v5
	v_and_b32_e32 v3, 0xfffff, v4
                                        ; implicit-def: $vgpr4
	s_delay_alu instid0(VALU_DEP_1) | instskip(NEXT) | instid1(VALU_DEP_1)
	v_dual_add_nc_u32 v46, 6, v5 :: v_dual_add_nc_u32 v54, v3, v2
                                        ; implicit-def: $vgpr2_vgpr3
	v_cmpx_ne_u32_e32 0, v46
	s_xor_b32 s8, exec_lo, s8
; %bb.975:                              ;   in Loop: Header=BB2_569 Depth=2
	s_delay_alu instid0(VALU_DEP_2) | instskip(SKIP_1) | instid1(VALU_DEP_1)
	v_cmp_lt_u64_e32 vcc_lo, 0xffffff, v[54:55]
	v_add_nc_u32_e32 v2, 7, v5
	v_cndmask_b32_e32 v4, v46, v2, vcc_lo
	v_cndmask_b32_e64 v2, 0, 1, vcc_lo
	s_delay_alu instid0(VALU_DEP_1)
	v_lshrrev_b64 v[2:3], v2, v[54:55]
; %bb.976:                              ;   in Loop: Header=BB2_569 Depth=2
	s_and_not1_saveexec_b32 s8, s8
; %bb.977:                              ;   in Loop: Header=BB2_569 Depth=2
	v_mov_b64_e32 v[2:3], v[54:55]
	v_bfe_u32 v4, v54, 23, 1
; %bb.978:                              ;   in Loop: Header=BB2_569 Depth=2
	s_or_b32 exec_lo, exec_lo, s8
	s_delay_alu instid0(VALU_DEP_2) | instskip(NEXT) | instid1(VALU_DEP_2)
	v_lshrrev_b64 v[2:3], 20, v[2:3]
	v_cmp_gt_i32_e32 vcc_lo, 16, v4
	v_min_i32_e32 v5, 15, v4
	v_cmp_eq_u32_e64 s8, 0, v4
	s_delay_alu instid0(VALU_DEP_2) | instskip(SKIP_1) | instid1(VALU_DEP_2)
	v_dual_cndmask_b32 v3, 0, v3, vcc_lo :: v_dual_lshlrev_b32 v5, 3, v5
	v_cndmask_b32_e32 v2, 7, v2, vcc_lo
	v_and_b32_e32 v5, 0xf8, v5
	s_delay_alu instid0(VALU_DEP_2) | instskip(NEXT) | instid1(VALU_DEP_2)
	v_cmp_eq_u64_e32 vcc_lo, 0, v[2:3]
	v_and_or_b32 v2, v2, 7, v5
	s_and_b32 s8, s8, vcc_lo
	s_delay_alu instid0(VALU_DEP_1) | instid1(SALU_CYCLE_1)
	v_cndmask_b32_e64 v2, v2, 0, s8
	s_delay_alu instid0(VALU_DEP_1)
	v_or_b32_e32 v3, v2, v119
.LBB2_979:                              ;   in Loop: Header=BB2_569 Depth=2
	s_or_b32 exec_lo, exec_lo, s20
                                        ; implicit-def: $vgpr119
.LBB2_980:                              ;   in Loop: Header=BB2_569 Depth=2
	s_and_not1_saveexec_b32 s8, s19
; %bb.981:                              ;   in Loop: Header=BB2_569 Depth=2
	v_or_b32_e32 v3, 0x7e, v119
; %bb.982:                              ;   in Loop: Header=BB2_569 Depth=2
	s_or_b32 exec_lo, exec_lo, s8
                                        ; implicit-def: $vgpr4
.LBB2_983:                              ;   in Loop: Header=BB2_569 Depth=2
	s_and_not1_saveexec_b32 s8, s18
; %bb.984:                              ;   in Loop: Header=BB2_569 Depth=2
	v_or_b32_e32 v3, 0x7f, v4
; %bb.985:                              ;   in Loop: Header=BB2_569 Depth=2
	s_or_b32 exec_lo, exec_lo, s8
	v_dual_lshlrev_b32 v2, 16, v40 :: v_dual_lshlrev_b32 v4, 16, v118
	s_delay_alu instid0(VALU_DEP_2) | instskip(SKIP_1) | instid1(VALU_DEP_3)
	v_dual_lshlrev_b32 v5, 24, v41 :: v_dual_lshlrev_b32 v3, 24, v3
	v_cmp_lt_u32_e32 vcc_lo, 7, v57
	v_lshl_or_b32 v2, v43, 8, v2
	s_delay_alu instid0(VALU_DEP_4) | instskip(SKIP_2) | instid1(VALU_DEP_2)
	v_lshl_or_b32 v4, v45, 8, v4
	s_mov_b32 s8, -1
	s_cmp_lg_u32 vcc_lo, exec_lo
	v_or3_b32 v2, v2, v5, v117
	s_delay_alu instid0(VALU_DEP_2)
	v_or3_b32 v3, v4, v3, v44
	s_cbranch_scc0 .LBB2_1001
; %bb.986:                              ;   in Loop: Header=BB2_569 Depth=2
	s_mov_b32 s18, exec_lo
	flat_store_b8 v[18:19], v117
	s_wait_xcnt 0x0
	v_cmpx_ne_u32_e32 1, v57
	s_cbranch_execz .LBB2_988
; %bb.987:                              ;   in Loop: Header=BB2_569 Depth=2
	v_lshrrev_b32_e32 v4, 8, v2
	flat_store_b8 v[18:19], v4 offset:1
.LBB2_988:                              ;   in Loop: Header=BB2_569 Depth=2
	s_wait_xcnt 0x0
	s_or_b32 exec_lo, exec_lo, s18
	s_delay_alu instid0(SALU_CYCLE_1)
	s_mov_b32 s18, exec_lo
	v_cmpx_lt_u32_e32 2, v57
	s_cbranch_execz .LBB2_990
; %bb.989:                              ;   in Loop: Header=BB2_569 Depth=2
	flat_store_d16_hi_b8 v[18:19], v2 offset:2
.LBB2_990:                              ;   in Loop: Header=BB2_569 Depth=2
	s_wait_xcnt 0x0
	s_or_b32 exec_lo, exec_lo, s18
	s_delay_alu instid0(SALU_CYCLE_1)
	s_mov_b32 s18, exec_lo
	v_cmpx_lt_u32_e32 3, v57
	s_cbranch_execz .LBB2_992
; %bb.991:                              ;   in Loop: Header=BB2_569 Depth=2
	v_lshrrev_b32_e32 v4, 24, v2
	flat_store_b8 v[18:19], v4 offset:3
.LBB2_992:                              ;   in Loop: Header=BB2_569 Depth=2
	s_wait_xcnt 0x0
	s_or_b32 exec_lo, exec_lo, s18
	s_delay_alu instid0(SALU_CYCLE_1)
	s_mov_b32 s18, exec_lo
	v_cmpx_lt_u32_e32 4, v57
	s_cbranch_execz .LBB2_994
; %bb.993:                              ;   in Loop: Header=BB2_569 Depth=2
	flat_store_b8 v[18:19], v44 offset:4
.LBB2_994:                              ;   in Loop: Header=BB2_569 Depth=2
	s_wait_xcnt 0x0
	s_or_b32 exec_lo, exec_lo, s18
	s_delay_alu instid0(SALU_CYCLE_1)
	s_mov_b32 s18, exec_lo
	v_cmpx_lt_u32_e32 5, v57
	s_cbranch_execz .LBB2_996
; %bb.995:                              ;   in Loop: Header=BB2_569 Depth=2
	v_lshrrev_b32_e32 v4, 8, v3
	flat_store_b8 v[18:19], v4 offset:5
.LBB2_996:                              ;   in Loop: Header=BB2_569 Depth=2
	s_wait_xcnt 0x0
	s_or_b32 exec_lo, exec_lo, s18
	s_delay_alu instid0(SALU_CYCLE_1)
	s_mov_b32 s18, exec_lo
	v_cmpx_lt_u32_e32 6, v57
	s_cbranch_execz .LBB2_998
; %bb.997:                              ;   in Loop: Header=BB2_569 Depth=2
	flat_store_d16_hi_b8 v[18:19], v3 offset:6
.LBB2_998:                              ;   in Loop: Header=BB2_569 Depth=2
	s_wait_xcnt 0x0
	s_or_b32 exec_lo, exec_lo, s18
	s_and_saveexec_b32 s8, vcc_lo
	s_cbranch_execz .LBB2_1000
; %bb.999:                              ;   in Loop: Header=BB2_569 Depth=2
	v_lshrrev_b32_e32 v4, 24, v3
	flat_store_b8 v[18:19], v4 offset:7
.LBB2_1000:                             ;   in Loop: Header=BB2_569 Depth=2
	s_wait_xcnt 0x0
	s_or_b32 exec_lo, exec_lo, s8
	s_mov_b32 s8, 0
.LBB2_1001:                             ;   in Loop: Header=BB2_569 Depth=2
	s_delay_alu instid0(SALU_CYCLE_1)
	s_and_b32 vcc_lo, exec_lo, s8
	s_cbranch_vccz .LBB2_568
; %bb.1002:                             ;   in Loop: Header=BB2_569 Depth=2
	global_store_b64 v[18:19], v[2:3], off
	s_branch .LBB2_568
.LBB2_1003:                             ;   in Loop: Header=BB2_36 Depth=1
	s_or_b32 exec_lo, exec_lo, s17
	s_delay_alu instid0(SALU_CYCLE_1)
	s_or_b32 exec_lo, exec_lo, s9
	s_and_saveexec_b32 s8, s3
	s_cbranch_execz .LBB2_566
.LBB2_1004:                             ;   in Loop: Header=BB2_36 Depth=1
	s_and_saveexec_b32 s9, s4
	s_delay_alu instid0(SALU_CYCLE_1)
	s_xor_b32 s9, exec_lo, s9
	s_cbranch_execz .LBB2_1019
; %bb.1005:                             ;   in Loop: Header=BB2_36 Depth=1
	s_and_saveexec_b32 s17, s5
	s_cbranch_execz .LBB2_1018
; %bb.1006:                             ;   in Loop: Header=BB2_36 Depth=1
	s_mov_b32 s19, exec_lo
	s_mov_b32 s18, exec_lo
	v_mbcnt_lo_u32_b32 v2, s19, 0
	global_wb scope:SCOPE_DEV
	s_wait_storecnt 0x0
	s_wait_loadcnt_dscnt 0x0
	global_inv scope:SCOPE_DEV
	v_cmpx_eq_u32_e32 0, v2
	s_cbranch_execz .LBB2_1008
; %bb.1007:                             ;   in Loop: Header=BB2_36 Depth=1
	s_bcnt1_i32_b32 s19, s19
	s_delay_alu instid0(SALU_CYCLE_1)
	v_mov_b32_e32 v54, s19
	s_wait_loadcnt 0x0
	ds_add_u64 v0, v[54:55]
	s_trap 2
.LBB2_1008:                             ;   in Loop: Header=BB2_36 Depth=1
	s_or_b32 exec_lo, exec_lo, s18
	s_trap 2
	ds_load_b64 v[2:3], v0
	s_wait_dscnt 0x0
	v_add_nc_u64_e32 v[52:53], v[52:53], v[82:83]
	s_mov_b32 s18, exec_lo
	s_delay_alu instid0(VALU_DEP_1)
	v_cmpx_lt_u64_e64 v[2:3], v[52:53]
	s_cbranch_execz .LBB2_1017
; %bb.1009:                             ;   in Loop: Header=BB2_36 Depth=1
	s_mov_b32 s19, 0
	s_mov_b32 s22, 0
                                        ; implicit-def: $sgpr20
                                        ; implicit-def: $sgpr21
	s_branch .LBB2_1011
.LBB2_1010:                             ;   in Loop: Header=BB2_1011 Depth=2
	s_or_b32 exec_lo, exec_lo, s24
	s_delay_alu instid0(SALU_CYCLE_1) | instskip(NEXT) | instid1(SALU_CYCLE_1)
	s_and_b32 s23, exec_lo, s25
	s_or_b32 s19, s23, s19
	s_and_not1_b32 s20, s20, exec_lo
	s_and_b32 s23, s21, exec_lo
	s_delay_alu instid0(SALU_CYCLE_1)
	s_or_b32 s20, s20, s23
	s_and_not1_b32 exec_lo, exec_lo, s19
	s_cbranch_execz .LBB2_1015
.LBB2_1011:                             ;   Parent Loop BB2_36 Depth=1
                                        ; =>  This Inner Loop Header: Depth=2
	s_add_co_i32 s22, s22, 1
	s_delay_alu instid0(SALU_CYCLE_1) | instskip(SKIP_1) | instid1(SALU_CYCLE_1)
	s_cmp_lg_u32 s22, 0x2710
	s_cselect_b32 s23, -1, 0
	s_and_b32 vcc_lo, exec_lo, s23
	s_cbranch_vccz .LBB2_1013
; %bb.1012:                             ;   in Loop: Header=BB2_1011 Depth=2
	s_mov_b32 s25, -1
	s_or_b32 s21, s21, exec_lo
	s_and_saveexec_b32 s24, s23
	s_cbranch_execz .LBB2_1010
	s_branch .LBB2_1014
.LBB2_1013:                             ;   in Loop: Header=BB2_1011 Depth=2
	s_trap 2
	ds_load_b64 v[2:3], v0
	s_and_not1_b32 s23, s23, exec_lo
	s_mov_b32 s22, 0
	s_wait_loadcnt_dscnt 0x0
	flat_load_b32 v2, v[2:3] scope:SCOPE_SYS
	s_wait_loadcnt_dscnt 0x0
	global_inv scope:SCOPE_SYS
	v_cmp_eq_u32_e32 vcc_lo, 0, v2
	s_and_b32 s24, vcc_lo, exec_lo
	s_delay_alu instid0(SALU_CYCLE_1)
	s_or_b32 s23, s23, s24
	s_mov_b32 s25, -1
	s_or_b32 s21, s21, exec_lo
	s_and_saveexec_b32 s24, s23
	s_cbranch_execz .LBB2_1010
.LBB2_1014:                             ;   in Loop: Header=BB2_1011 Depth=2
	s_sleep 1
	s_trap 2
	ds_load_b64 v[2:3], v0
	s_wait_dscnt 0x0
	s_and_not1_b32 s21, s21, exec_lo
	v_cmp_ge_u64_e32 vcc_lo, v[2:3], v[52:53]
	s_or_not1_b32 s25, vcc_lo, exec_lo
	s_branch .LBB2_1010
.LBB2_1015:                             ;   in Loop: Header=BB2_36 Depth=1
	s_or_b32 exec_lo, exec_lo, s19
	s_and_saveexec_b32 s19, s20
	s_delay_alu instid0(SALU_CYCLE_1)
	s_xor_b32 s19, exec_lo, s19
	s_cbranch_execz .LBB2_1017
; %bb.1016:                             ;   in Loop: Header=BB2_36 Depth=1
	ds_store_b32 v0, v1
	s_trap 2
.LBB2_1017:                             ;   in Loop: Header=BB2_36 Depth=1
	s_or_b32 exec_lo, exec_lo, s18
	;;#ASMSTART
	s_wakeup
	;;#ASMEND
.LBB2_1018:                             ;   in Loop: Header=BB2_36 Depth=1
	s_or_b32 exec_lo, exec_lo, s17
.LBB2_1019:                             ;   in Loop: Header=BB2_36 Depth=1
	s_and_not1_saveexec_b32 s9, s9
	s_cbranch_execz .LBB2_1021
; %bb.1020:                             ;   in Loop: Header=BB2_36 Depth=1
	global_wb scope:SCOPE_DEV
	s_wait_storecnt 0x0
	s_wait_loadcnt_dscnt 0x0
	global_inv scope:SCOPE_DEV
	s_barrier_signal -1
	s_barrier_wait -1
.LBB2_1021:                             ;   in Loop: Header=BB2_36 Depth=1
	s_or_b32 exec_lo, exec_lo, s9
	s_delay_alu instid0(SALU_CYCLE_1)
	s_or_b32 exec_lo, exec_lo, s8
	s_and_saveexec_b32 s8, s7
	s_cbranch_execz .LBB2_35
.LBB2_1022:                             ;   in Loop: Header=BB2_36 Depth=1
	v_add_nc_u64_e32 v[38:39], 1, v[38:39]
	global_wb scope:SCOPE_SYS
	s_wait_storecnt 0x0
	s_wait_loadcnt_dscnt 0x0
	flat_store_b64 v[48:49], v[38:39] scope:SCOPE_SYS
	s_branch .LBB2_35
.LBB2_1023:
	s_or_b32 exec_lo, exec_lo, s15
	s_delay_alu instid0(SALU_CYCLE_1)
	s_or_b32 exec_lo, exec_lo, s13
	s_and_saveexec_b32 s1, s12
	s_cbranch_execz .LBB2_20
.LBB2_1024:
	s_wait_dscnt 0x0
	flat_store_b64 v[28:29], v[38:39] offset:104
	s_wait_xcnt 0x0
	s_or_b32 exec_lo, exec_lo, s1
	s_and_saveexec_b32 s1, s0
	s_cbranch_execnz .LBB2_21
	s_branch .LBB2_22
.LBB2_1025:
	s_or_b32 exec_lo, exec_lo, s4
	s_and_saveexec_b32 s4, s5
	s_delay_alu instid0(SALU_CYCLE_1)
	s_xor_b32 s4, exec_lo, s4
	s_cbranch_execz .LBB2_1027
; %bb.1026:
	v_mov_b32_e32 v0, 1
	ds_store_b32 v0, v0
	s_trap 2
.LBB2_1027:
	s_or_b32 exec_lo, exec_lo, s3
	;;#ASMSTART
	s_wakeup
	;;#ASMEND
.LBB2_1028:
	s_or_b32 exec_lo, exec_lo, s2
.LBB2_1029:
	s_and_not1_saveexec_b32 s1, s1
	s_cbranch_execz .LBB2_1031
; %bb.1030:
	global_wb scope:SCOPE_DEV
	s_wait_storecnt 0x0
	s_wait_loadcnt_dscnt 0x0
	global_inv scope:SCOPE_DEV
	s_barrier_signal -1
	s_barrier_wait -1
.LBB2_1031:
	s_or_b32 exec_lo, exec_lo, s0
	s_clause 0x15
	scratch_load_b32 v77, off, s32
	scratch_load_b32 v76, off, s32 offset:4
	scratch_load_b32 v75, off, s32 offset:8
	;; [unrolled: 1-line block ×21, first 2 shown]
	s_wait_loadcnt_dscnt 0x0
	s_set_pc_i64 s[30:31]
.Lfunc_end2:
	.size	_ZN12_GLOBAL__N_17runRingI14__hip_fp8_e4m310FuncMinMaxIS1_E7ProtoLLLi0ELi2ELi0EEEviiP15ncclDevWorkColl, .Lfunc_end2-_ZN12_GLOBAL__N_17runRingI14__hip_fp8_e4m310FuncMinMaxIS1_E7ProtoLLLi0ELi2ELi0EEEviiP15ncclDevWorkColl
                                        ; -- End function
	.set .L_ZN12_GLOBAL__N_17runRingI14__hip_fp8_e4m310FuncMinMaxIS1_E7ProtoLLLi0ELi2ELi0EEEviiP15ncclDevWorkColl.num_vgpr, 120
	.set .L_ZN12_GLOBAL__N_17runRingI14__hip_fp8_e4m310FuncMinMaxIS1_E7ProtoLLLi0ELi2ELi0EEEviiP15ncclDevWorkColl.num_agpr, 0
	.set .L_ZN12_GLOBAL__N_17runRingI14__hip_fp8_e4m310FuncMinMaxIS1_E7ProtoLLLi0ELi2ELi0EEEviiP15ncclDevWorkColl.numbered_sgpr, 33
	.set .L_ZN12_GLOBAL__N_17runRingI14__hip_fp8_e4m310FuncMinMaxIS1_E7ProtoLLLi0ELi2ELi0EEEviiP15ncclDevWorkColl.num_named_barrier, 0
	.set .L_ZN12_GLOBAL__N_17runRingI14__hip_fp8_e4m310FuncMinMaxIS1_E7ProtoLLLi0ELi2ELi0EEEviiP15ncclDevWorkColl.private_seg_size, 92
	.set .L_ZN12_GLOBAL__N_17runRingI14__hip_fp8_e4m310FuncMinMaxIS1_E7ProtoLLLi0ELi2ELi0EEEviiP15ncclDevWorkColl.uses_vcc, 1
	.set .L_ZN12_GLOBAL__N_17runRingI14__hip_fp8_e4m310FuncMinMaxIS1_E7ProtoLLLi0ELi2ELi0EEEviiP15ncclDevWorkColl.uses_flat_scratch, 1
	.set .L_ZN12_GLOBAL__N_17runRingI14__hip_fp8_e4m310FuncMinMaxIS1_E7ProtoLLLi0ELi2ELi0EEEviiP15ncclDevWorkColl.has_dyn_sized_stack, 0
	.set .L_ZN12_GLOBAL__N_17runRingI14__hip_fp8_e4m310FuncMinMaxIS1_E7ProtoLLLi0ELi2ELi0EEEviiP15ncclDevWorkColl.has_recursion, 0
	.set .L_ZN12_GLOBAL__N_17runRingI14__hip_fp8_e4m310FuncMinMaxIS1_E7ProtoLLLi0ELi2ELi0EEEviiP15ncclDevWorkColl.has_indirect_call, 0
	.section	.AMDGPU.csdata,"",@progbits
; Function info:
; codeLenInByte = 31944
; TotalNumSgprs: 35
; NumVgprs: 120
; ScratchSize: 92
; MemoryBound: 0
	.text
	.p2align	2                               ; -- Begin function _Z53ncclDevFunc_ReduceScatter_RING_LL_MinMax_f8e4m3_0_0_2v
	.type	_Z53ncclDevFunc_ReduceScatter_RING_LL_MinMax_f8e4m3_0_0_2v,@function
_Z53ncclDevFunc_ReduceScatter_RING_LL_MinMax_f8e4m3_0_0_2v: ; @_Z53ncclDevFunc_ReduceScatter_RING_LL_MinMax_f8e4m3_0_0_2v
; %bb.0:
	s_wait_loadcnt_dscnt 0x0
	s_wait_kmcnt 0x0
	s_mov_b32 s47, s33
	s_mov_b32 s33, s32
	s_or_saveexec_b32 s0, -1
	scratch_store_b32 off, v41, s33 offset:4 ; 4-byte Folded Spill
	s_wait_xcnt 0x0
	s_mov_b32 exec_lo, s0
	s_add_co_i32 s32, s32, 16
	scratch_store_b32 off, v40, s33         ; 4-byte Folded Spill
	v_writelane_b32 v41, s30, 0
	v_writelane_b32 v41, s31, 1
	s_trap 2
	ds_load_b32 v0, v0
	s_wait_xcnt 0x0
	v_and_b32_e32 v40, 0x3ff, v31
	s_mov_b32 s42, s12
	s_mov_b64 s[40:41], s[8:9]
	s_mov_b32 s2, exec_lo
	s_wait_dscnt 0x0
	v_cmpx_lt_i32_e64 v40, v0
	s_cbranch_execz .LBB3_5
; %bb.1:
	s_load_b32 s0, s[40:41], 0x0
	s_bfe_u32 s1, ttmp6, 0x4000c
	s_and_b32 s3, ttmp6, 15
	s_add_co_i32 s1, s1, 1
	s_getreg_b32 s4, hwreg(HW_REG_IB_STS2, 6, 4)
	s_mul_i32 s1, ttmp9, s1
	v_mov_b32_e32 v2, v40
	s_add_co_i32 s3, s3, s1
	s_cmp_eq_u32 s4, 0
                                        ; implicit-def: $vgpr3
	s_cselect_b32 s1, ttmp9, s3
	s_mov_b32 s3, 0
	s_wait_kmcnt 0x0
	s_cmp_lt_u32 s1, s0
	s_mov_b32 s1, 0
	s_cselect_b32 s0, 12, 18
	s_delay_alu instid0(SALU_CYCLE_1)
	s_add_nc_u64 s[4:5], s[40:41], s[0:1]
	s_load_u16 s0, s[4:5], 0x0
	s_trap 2
	ds_load_b32 v1, v0
	s_wait_dscnt 0x0
	s_wait_kmcnt 0x0
	v_mul_lo_u32 v1, v1, s0
	s_branch .LBB3_3
.LBB3_2:                                ;   in Loop: Header=BB3_3 Depth=1
	s_or_b32 exec_lo, exec_lo, s4
	v_dual_add_nc_u32 v2, s0, v2 :: v_dual_add_nc_u32 v3, v3, v1
	s_delay_alu instid0(VALU_DEP_1) | instskip(SKIP_1) | instid1(SALU_CYCLE_1)
	v_cmp_ge_i32_e32 vcc_lo, v2, v0
	s_or_b32 s3, vcc_lo, s3
	s_and_not1_b32 exec_lo, exec_lo, s3
	s_cbranch_execz .LBB3_5
.LBB3_3:                                ; =>This Inner Loop Header: Depth=1
	ds_load_b32 v4, v3
	s_mov_b32 s4, exec_lo
	s_wait_dscnt 0x0
	v_and_b32_e32 v4, 0x1000000, v4
	s_delay_alu instid0(VALU_DEP_1)
	v_cmpx_ne_u32_e32 0, v4
	s_cbranch_execz .LBB3_2
; %bb.4:                                ;   in Loop: Header=BB3_3 Depth=1
	ds_load_b64 v[4:5], v3 offset:104
	s_wait_dscnt 0x0
	flat_load_u8 v4, v[4:5]
	s_wait_xcnt 0x0
	v_mov_b32_e32 v5, s1
	s_wait_loadcnt_dscnt 0x0
	v_and_b32_e32 v4, 0xffff, v4
	ds_store_b64 v3, v[4:5] offset:104
	s_branch .LBB3_2
.LBB3_5:
	s_or_b32 exec_lo, exec_lo, s2
	s_wait_storecnt_dscnt 0x0
	s_barrier_signal -1
	s_barrier_wait -1
	s_trap 2
	ds_load_b32 v0, v0
	s_wait_dscnt 0x0
	v_cmp_gt_i32_e32 vcc_lo, 1, v0
	s_cbranch_vccnz .LBB3_13
; %bb.6:
	s_mov_b32 s43, 0
	s_get_pc_i64 s[44:45]
	s_add_nc_u64 s[44:45], s[44:45], _ZN12_GLOBAL__N_17runRingI14__hip_fp8_e4m310FuncMinMaxIS1_E7ProtoLLLi0ELi2ELi0EEEviiP15ncclDevWorkColl@rel64+4
	s_branch .LBB3_8
.LBB3_7:                                ;   in Loop: Header=BB3_8 Depth=1
	s_or_b32 exec_lo, exec_lo, s46
	s_trap 2
	ds_load_b32 v0, v0
	s_add_co_i32 s43, s43, 1
	s_wait_dscnt 0x0
	v_cmp_lt_i32_e32 vcc_lo, s43, v0
	s_cbranch_vccz .LBB3_13
.LBB3_8:                                ; =>This Inner Loop Header: Depth=1
	s_trap 2
	ds_load_b32 v0, v0
	s_cmp_eq_u32 s43, 0
	s_cbranch_scc1 .LBB3_11
; %bb.9:                                ;   in Loop: Header=BB3_8 Depth=1
	s_trap 2
	s_wait_dscnt 0x0
	ds_load_b32 v1, v0
	s_wait_dscnt 0x0
	v_xor_b32_e32 v1, v1, v0
	s_delay_alu instid0(VALU_DEP_1) | instskip(NEXT) | instid1(VALU_DEP_1)
	v_and_b32_e32 v1, 0xff0000, v1
	v_cmp_eq_u32_e32 vcc_lo, 0, v1
	s_cbranch_vccnz .LBB3_11
; %bb.10:                               ;   in Loop: Header=BB3_8 Depth=1
	s_barrier_signal -1
	s_barrier_wait -1
	ds_load_b32 v0, v0
.LBB3_11:                               ;   in Loop: Header=BB3_8 Depth=1
	s_wait_dscnt 0x0
	v_lshrrev_b32_e32 v0, 11, v0
	s_mov_b32 s46, exec_lo
	s_delay_alu instid0(VALU_DEP_1) | instskip(NEXT) | instid1(VALU_DEP_1)
	v_and_b32_e32 v1, 0x1fe0, v0
	v_cmpx_lt_u32_e64 v40, v1
	s_cbranch_execz .LBB3_7
; %bb.12:                               ;   in Loop: Header=BB3_8 Depth=1
	s_mov_b64 s[0:1], src_shared_base
	s_delay_alu instid0(SALU_CYCLE_1)
	v_dual_mov_b32 v0, v40 :: v_dual_mov_b32 v3, s1
	s_mov_b64 s[8:9], s[40:41]
	s_mov_b32 s12, s42
	s_swap_pc_i64 s[30:31], s[44:45]
	s_branch .LBB3_7
.LBB3_13:
	scratch_load_b32 v40, off, s33          ; 4-byte Folded Reload
	v_readlane_b32 s30, v41, 0
	v_readlane_b32 s31, v41, 1
	s_mov_b32 s32, s33
	s_wait_xcnt 0x0
	s_or_saveexec_b32 s0, -1
	scratch_load_b32 v41, off, s33 offset:4 ; 4-byte Folded Reload
	s_wait_xcnt 0x0
	s_mov_b32 exec_lo, s0
	s_mov_b32 s33, s47
	s_wait_loadcnt 0x0
	s_set_pc_i64 s[30:31]
.Lfunc_end3:
	.size	_Z53ncclDevFunc_ReduceScatter_RING_LL_MinMax_f8e4m3_0_0_2v, .Lfunc_end3-_Z53ncclDevFunc_ReduceScatter_RING_LL_MinMax_f8e4m3_0_0_2v
                                        ; -- End function
	.set .L_Z53ncclDevFunc_ReduceScatter_RING_LL_MinMax_f8e4m3_0_0_2v.num_vgpr, max(42, .L_ZN12_GLOBAL__N_17runRingI14__hip_fp8_e4m310FuncMinMaxIS1_E7ProtoLLLi0ELi2ELi0EEEviiP15ncclDevWorkColl.num_vgpr)
	.set .L_Z53ncclDevFunc_ReduceScatter_RING_LL_MinMax_f8e4m3_0_0_2v.num_agpr, max(0, .L_ZN12_GLOBAL__N_17runRingI14__hip_fp8_e4m310FuncMinMaxIS1_E7ProtoLLLi0ELi2ELi0EEEviiP15ncclDevWorkColl.num_agpr)
	.set .L_Z53ncclDevFunc_ReduceScatter_RING_LL_MinMax_f8e4m3_0_0_2v.numbered_sgpr, max(48, .L_ZN12_GLOBAL__N_17runRingI14__hip_fp8_e4m310FuncMinMaxIS1_E7ProtoLLLi0ELi2ELi0EEEviiP15ncclDevWorkColl.numbered_sgpr)
	.set .L_Z53ncclDevFunc_ReduceScatter_RING_LL_MinMax_f8e4m3_0_0_2v.num_named_barrier, max(0, .L_ZN12_GLOBAL__N_17runRingI14__hip_fp8_e4m310FuncMinMaxIS1_E7ProtoLLLi0ELi2ELi0EEEviiP15ncclDevWorkColl.num_named_barrier)
	.set .L_Z53ncclDevFunc_ReduceScatter_RING_LL_MinMax_f8e4m3_0_0_2v.private_seg_size, 16+max(.L_ZN12_GLOBAL__N_17runRingI14__hip_fp8_e4m310FuncMinMaxIS1_E7ProtoLLLi0ELi2ELi0EEEviiP15ncclDevWorkColl.private_seg_size)
	.set .L_Z53ncclDevFunc_ReduceScatter_RING_LL_MinMax_f8e4m3_0_0_2v.uses_vcc, or(1, .L_ZN12_GLOBAL__N_17runRingI14__hip_fp8_e4m310FuncMinMaxIS1_E7ProtoLLLi0ELi2ELi0EEEviiP15ncclDevWorkColl.uses_vcc)
	.set .L_Z53ncclDevFunc_ReduceScatter_RING_LL_MinMax_f8e4m3_0_0_2v.uses_flat_scratch, or(0, .L_ZN12_GLOBAL__N_17runRingI14__hip_fp8_e4m310FuncMinMaxIS1_E7ProtoLLLi0ELi2ELi0EEEviiP15ncclDevWorkColl.uses_flat_scratch)
	.set .L_Z53ncclDevFunc_ReduceScatter_RING_LL_MinMax_f8e4m3_0_0_2v.has_dyn_sized_stack, or(0, .L_ZN12_GLOBAL__N_17runRingI14__hip_fp8_e4m310FuncMinMaxIS1_E7ProtoLLLi0ELi2ELi0EEEviiP15ncclDevWorkColl.has_dyn_sized_stack)
	.set .L_Z53ncclDevFunc_ReduceScatter_RING_LL_MinMax_f8e4m3_0_0_2v.has_recursion, or(1, .L_ZN12_GLOBAL__N_17runRingI14__hip_fp8_e4m310FuncMinMaxIS1_E7ProtoLLLi0ELi2ELi0EEEviiP15ncclDevWorkColl.has_recursion)
	.set .L_Z53ncclDevFunc_ReduceScatter_RING_LL_MinMax_f8e4m3_0_0_2v.has_indirect_call, or(0, .L_ZN12_GLOBAL__N_17runRingI14__hip_fp8_e4m310FuncMinMaxIS1_E7ProtoLLLi0ELi2ELi0EEEviiP15ncclDevWorkColl.has_indirect_call)
	.section	.AMDGPU.csdata,"",@progbits
; Function info:
; codeLenInByte = 684
; TotalNumSgprs: 50
; NumVgprs: 120
; ScratchSize: 108
; MemoryBound: 0
	.text
	.p2align	2                               ; -- Begin function _ZN12_GLOBAL__N_17runRingI14__hip_fp8_e4m310FuncMinMaxIS1_E7ProtoLLLi0ELi4ELi0EEEviiP15ncclDevWorkColl
	.type	_ZN12_GLOBAL__N_17runRingI14__hip_fp8_e4m310FuncMinMaxIS1_E7ProtoLLLi0ELi4ELi0EEEviiP15ncclDevWorkColl,@function
_ZN12_GLOBAL__N_17runRingI14__hip_fp8_e4m310FuncMinMaxIS1_E7ProtoLLLi0ELi4ELi0EEEviiP15ncclDevWorkColl: ; @_ZN12_GLOBAL__N_17runRingI14__hip_fp8_e4m310FuncMinMaxIS1_E7ProtoLLLi0ELi4ELi0EEEviiP15ncclDevWorkColl
; %bb.0:
	s_wait_loadcnt_dscnt 0x0
	s_wait_kmcnt 0x0
	s_clause 0x15
	scratch_store_b32 off, v40, s32 offset:84
	; meta instruction
	scratch_store_b32 off, v41, s32 offset:80
	; meta instruction
	;; [unrolled: 2-line block ×21, first 2 shown]
	scratch_store_b32 off, v77, s32
	s_trap 2
	s_clause 0x2
	flat_load_b32 v12, v[2:3]
	flat_load_b128 v[4:7], v[2:3] offset:72
	flat_load_b64 v[68:69], v[2:3] offset:88
	v_mov_b32_e32 v20, v1
	ds_load_b32 v8, v0
	ds_load_b64 v[22:23], v0
	s_mov_b32 s0, exec_lo
                                        ; implicit-def: $vgpr54_vgpr55
                                        ; implicit-def: $vgpr24_vgpr25
	s_wait_dscnt 0x1
	v_readfirstlane_b32 s10, v8
	s_wait_loadcnt 0x2
	v_bfe_u32 v9, v12, 8, 8
	v_bitop3_b32 v1, v12, 0xff, v12 bitop3:0x3f
	s_delay_alu instid0(VALU_DEP_1) | instskip(NEXT) | instid1(VALU_DEP_1)
	v_add_nc_u32_e32 v10, v9, v1
	v_ashrrev_i32_e32 v11, 31, v10
	s_wait_loadcnt 0x1
	s_delay_alu instid0(VALU_DEP_1) | instskip(SKIP_2) | instid1(VALU_DEP_1)
	v_mul_u64_e32 v[18:19], v[6:7], v[10:11]
	v_and_b32_e32 v10, 0xff, v12
	s_wait_xcnt 0x0
	v_cmpx_ne_u32_e64 v8, v10
	s_xor_b32 s0, exec_lo, s0
	s_cbranch_execz .LBB4_6
; %bb.1:
	s_mov_b32 s1, exec_lo
                                        ; implicit-def: $vgpr54_vgpr55
                                        ; implicit-def: $vgpr24_vgpr25
	v_cmpx_ne_u32_e64 v8, v9
	s_xor_b32 s1, exec_lo, s1
	s_cbranch_execz .LBB4_3
; %bb.2:
	flat_load_b64 v[10:11], v[2:3] offset:96
	v_add_nc_u32_e32 v1, v8, v1
	s_delay_alu instid0(VALU_DEP_1) | instskip(NEXT) | instid1(VALU_DEP_1)
	v_mad_nc_u64_u32 v[24:25], v6, v1, v[4:5]
	v_mad_u32 v8, v7, v1, v25
	v_ashrrev_i32_e32 v1, 31, v1
	s_delay_alu instid0(VALU_DEP_1)
	v_mad_u32 v25, v6, v1, v8
	s_wait_loadcnt_dscnt 0x0
	v_lshrrev_b64 v[54:55], 17, v[10:11]
.LBB4_3:
	s_wait_xcnt 0x0
	s_and_not1_saveexec_b32 s1, s1
	s_cbranch_execz .LBB4_5
; %bb.4:
	flat_load_b32 v1, v[2:3] offset:100
	v_add_nc_u64_e32 v[24:25], v[18:19], v[4:5]
	s_wait_loadcnt 0x1
	v_mov_b64_e32 v[6:7], v[68:69]
	s_wait_loadcnt_dscnt 0x0
	v_lshrrev_b32_e32 v54, 6, v1
.LBB4_5:
	s_wait_xcnt 0x0
	s_or_b32 exec_lo, exec_lo, s1
.LBB4_6:
	s_and_not1_saveexec_b32 s0, s0
	s_cbranch_execz .LBB4_8
; %bb.7:
	flat_load_b64 v[6:7], v[2:3] offset:96
	v_mov_b64_e32 v[24:25], 0
	s_wait_loadcnt_dscnt 0x0
	v_lshlrev_b64_e32 v[54:55], 4, v[6:7]
	v_mov_b64_e32 v[6:7], v[4:5]
.LBB4_8:
	s_wait_xcnt 0x0
	s_or_b32 exec_lo, exec_lo, s0
	s_load_b32 s0, s[8:9], 0x0
	s_clause 0x2
	flat_load_b64 v[86:87], v[2:3] offset:104
	flat_load_u16 v13, v[2:3] offset:8
	flat_load_b32 v12, v[2:3] offset:4
	s_bfe_u32 s1, ttmp6, 0x4000c
	s_and_b32 s2, ttmp6, 15
	s_add_co_i32 s1, s1, 1
	s_getreg_b32 s3, hwreg(HW_REG_IB_STS2, 6, 4)
	s_mul_i32 s1, ttmp9, s1
	v_mov_b32_e32 v14, 0
	s_add_co_i32 s2, s2, s1
	s_cmp_eq_u32 s3, 0
	s_mov_b32 s1, 0
	s_cselect_b32 s2, ttmp9, s2
	v_mov_b64_e32 v[26:27], 0
	s_wait_kmcnt 0x0
	s_cmp_lt_u32 s2, s0
	s_cselect_b32 s0, 12, 18
	s_delay_alu instid0(SALU_CYCLE_1)
	s_add_nc_u64 s[2:3], s[8:9], s[0:1]
	flat_load_b128 v[8:11], v[2:3] offset:16
	global_load_u16 v1, v14, s[2:3]
	s_trap 2
	s_wait_xcnt 0x1
	ds_load_b32 v2, v0
	s_wait_dscnt 0x0
	v_cmp_gt_i32_e32 vcc_lo, 0, v2
	s_wait_xcnt 0x0
	v_readfirstlane_b32 s2, v2
	s_and_b32 vcc_lo, exec_lo, vcc_lo
	s_wait_loadcnt 0x2
	v_lshrrev_b64 v[14:15], 31, v[12:13]
	v_and_b32_e32 v12, 31, v0
	s_delay_alu instid0(VALU_DEP_1) | instskip(NEXT) | instid1(VALU_DEP_3)
	v_cmp_eq_u32_e64 s0, 0, v12
	v_and_b32_e32 v3, 3, v14
	s_delay_alu instid0(VALU_DEP_1)
	v_and_b32_e32 v13, 0xffff, v3
	s_cbranch_vccnz .LBB4_10
; %bb.9:
	s_trap 2
	ds_load_b64 v[14:15], v0
	s_mov_b32 s1, 1
	s_wait_dscnt 0x0
	v_readfirstlane_b32 s4, v14
	v_readfirstlane_b32 s5, v15
	flat_load_b64 v[2:3], v2, s[4:5] scale_offset
	s_wait_loadcnt_dscnt 0x0
	v_mad_nc_u64_u32 v[2:3], 0xa8, v13, v[2:3]
	s_clause 0x1
	flat_load_b64 v[32:33], v[2:3] offset:504
	flat_load_b64 v[34:35], v[2:3] offset:608
	v_add_nc_u64_e32 v[28:29], 0x1f8, v[2:3]
	s_wait_xcnt 0x0
	s_delay_alu instid0(VALU_DEP_1)
	v_dual_cndmask_b32 v3, 0, v29, s0 :: v_dual_cndmask_b32 v2, 0, v28, s0
	s_branch .LBB4_11
.LBB4_10:
	v_mov_b64_e32 v[28:29], 0
	v_mov_b64_e32 v[2:3], 0
                                        ; implicit-def: $vgpr34_vgpr35
                                        ; implicit-def: $vgpr32_vgpr33
.LBB4_11:
	s_trap 2
	ds_load_b32 v14, v0
	s_wait_dscnt 0x0
	v_cmp_gt_i32_e32 vcc_lo, 0, v14
	s_cbranch_vccnz .LBB4_13
; %bb.12:
	s_trap 2
	ds_load_b64 v[16:17], v0
	v_cmp_eq_u32_e32 vcc_lo, 0, v12
	s_wait_dscnt 0x0
	v_readfirstlane_b32 s4, v16
	v_readfirstlane_b32 s5, v17
	flat_load_b64 v[14:15], v14, s[4:5] scale_offset
	s_wait_loadcnt_dscnt 0x0
	v_mad_nc_u64_u32 v[26:27], 0xa8, v13, v[14:15]
	s_clause 0x1
	flat_load_b64 v[36:37], v[26:27]
	flat_load_b64 v[16:17], v[26:27] offset:104
	v_dual_cndmask_b32 v53, 0, v27 :: v_dual_cndmask_b32 v52, 0, v26
	s_branch .LBB4_14
.LBB4_13:
	v_mov_b64_e32 v[52:53], 0
                                        ; implicit-def: $vgpr16_vgpr17
                                        ; implicit-def: $vgpr36_vgpr37
.LBB4_14:
	s_wait_xcnt 0x2
	v_subrev_nc_u32_e32 v14, 32, v20
	v_cmp_gt_u32_e32 vcc_lo, s1, v12
	v_mov_b64_e32 v[12:13], 0
	v_mov_b64_e32 v[48:49], 0
                                        ; implicit-def: $vgpr38_vgpr39
	s_delay_alu instid0(VALU_DEP_4)
	v_cmp_ge_i32_e64 s0, v0, v14
	s_and_b32 s12, s0, vcc_lo
	s_wait_xcnt 0x0
	s_and_saveexec_b32 s0, s12
	s_cbranch_execz .LBB4_16
; %bb.15:
	s_clause 0x1
	flat_load_b64 v[48:49], v[2:3] offset:56
	flat_load_b64 v[38:39], v[2:3] offset:104
.LBB4_16:
	s_wait_xcnt 0x0
	s_or_b32 exec_lo, exec_lo, s0
	v_mov_b64_e32 v[50:51], 0
	v_cmp_gt_u32_e64 s0, s1, v0
                                        ; implicit-def: $vgpr64_vgpr65
	s_and_saveexec_b32 s1, s0
	s_cbranch_execz .LBB4_18
; %bb.17:
	flat_load_b64 v[50:51], v[52:53] offset:56
	s_wait_loadcnt_dscnt 0x0
	flat_load_b64 v[64:65], v[50:51] scope:SCOPE_SYS
	s_wait_loadcnt 0x0
	flat_load_b128 v[12:15], v[52:53] offset:96
.LBB4_18:
	s_wait_xcnt 0x0
	s_or_b32 exec_lo, exec_lo, s1
	v_mov_b64_e32 v[52:53], 0
	s_wait_loadcnt 0x0
	v_and_b32_e32 v30, 0xffff, v1
	s_mov_b32 s13, exec_lo
	v_cmpx_ne_u64_e32 0, v[6:7]
	s_cbranch_execnz .LBB4_34
; %bb.19:
	s_or_b32 exec_lo, exec_lo, s13
	s_and_saveexec_b32 s1, s12
	s_cbranch_execnz .LBB4_1024
.LBB4_20:
	s_or_b32 exec_lo, exec_lo, s1
	s_and_saveexec_b32 s1, s0
	s_cbranch_execz .LBB4_22
.LBB4_21:
	s_wait_dscnt 0x0
	flat_store_b64 v[26:27], v[14:15] offset:104
.LBB4_22:
	s_wait_xcnt 0x0
	s_or_b32 exec_lo, exec_lo, s1
	s_delay_alu instid0(SALU_CYCLE_1)
	s_mov_b32 s0, exec_lo
	v_cmpx_ne_u32_e32 32, v20
	s_cbranch_execz .LBB4_1031
; %bb.23:
	s_mov_b32 s1, exec_lo
	v_cmpx_ne_u32_e64 v20, v30
	s_xor_b32 s1, exec_lo, s1
	s_cbranch_execz .LBB4_1029
; %bb.24:
	v_and_b32_e32 v0, 31, v31
	s_mov_b32 s2, exec_lo
	s_delay_alu instid0(VALU_DEP_1)
	v_cmpx_eq_u32_e32 0, v0
	s_cbranch_execz .LBB4_1028
; %bb.25:
	s_mov_b32 s4, exec_lo
	s_mov_b32 s3, exec_lo
	v_mbcnt_lo_u32_b32 v0, s4, 0
	global_wb scope:SCOPE_DEV
	s_wait_storecnt 0x0
	s_wait_loadcnt_dscnt 0x0
	global_inv scope:SCOPE_DEV
	v_cmpx_eq_u32_e32 0, v0
	s_cbranch_execz .LBB4_27
; %bb.26:
	s_bcnt1_i32_b32 s4, s4
	s_delay_alu instid0(SALU_CYCLE_1)
	v_dual_mov_b32 v1, 0 :: v_dual_mov_b32 v0, s4
	s_wait_loadcnt 0x0
	ds_add_u64 v0, v[0:1]
	s_trap 2
.LBB4_27:
	s_or_b32 exec_lo, exec_lo, s3
	s_trap 2
	ds_load_b64 v[2:3], v0
	s_wait_dscnt 0x0
	v_dual_mov_b32 v1, 0 :: v_dual_lshrrev_b32 v0, 5, v20
	s_mov_b32 s3, exec_lo
	s_delay_alu instid0(VALU_DEP_1) | instskip(NEXT) | instid1(VALU_DEP_1)
	v_add_nc_u64_e32 v[0:1], v[52:53], v[0:1]
	v_cmpx_lt_u64_e64 v[2:3], v[0:1]
	s_cbranch_execz .LBB4_1027
; %bb.28:
	s_mov_b32 s4, 0
	s_mov_b32 s7, 0
                                        ; implicit-def: $sgpr5
                                        ; implicit-def: $sgpr6
	s_branch .LBB4_30
.LBB4_29:                               ;   in Loop: Header=BB4_30 Depth=1
	s_or_b32 exec_lo, exec_lo, s9
	s_delay_alu instid0(SALU_CYCLE_1) | instskip(NEXT) | instid1(SALU_CYCLE_1)
	s_and_b32 s8, exec_lo, s10
	s_or_b32 s4, s8, s4
	s_and_not1_b32 s5, s5, exec_lo
	s_and_b32 s8, s6, exec_lo
	s_delay_alu instid0(SALU_CYCLE_1)
	s_or_b32 s5, s5, s8
	s_and_not1_b32 exec_lo, exec_lo, s4
	s_cbranch_execz .LBB4_1025
.LBB4_30:                               ; =>This Inner Loop Header: Depth=1
	s_add_co_i32 s7, s7, 1
	s_delay_alu instid0(SALU_CYCLE_1) | instskip(SKIP_1) | instid1(SALU_CYCLE_1)
	s_cmp_lg_u32 s7, 0x2710
	s_cselect_b32 s8, -1, 0
	s_and_b32 vcc_lo, exec_lo, s8
	s_cbranch_vccz .LBB4_32
; %bb.31:                               ;   in Loop: Header=BB4_30 Depth=1
	s_mov_b32 s10, -1
	s_or_b32 s6, s6, exec_lo
	s_and_saveexec_b32 s9, s8
	s_cbranch_execz .LBB4_29
	s_branch .LBB4_33
.LBB4_32:                               ;   in Loop: Header=BB4_30 Depth=1
	s_trap 2
	ds_load_b64 v[2:3], v0
	s_and_not1_b32 s8, s8, exec_lo
	s_mov_b32 s7, 0
	s_wait_loadcnt_dscnt 0x0
	flat_load_b32 v2, v[2:3] scope:SCOPE_SYS
	s_wait_loadcnt_dscnt 0x0
	global_inv scope:SCOPE_SYS
	v_cmp_eq_u32_e32 vcc_lo, 0, v2
	s_and_b32 s9, vcc_lo, exec_lo
	s_delay_alu instid0(SALU_CYCLE_1)
	s_or_b32 s8, s8, s9
	s_mov_b32 s10, -1
	s_or_b32 s6, s6, exec_lo
	s_and_saveexec_b32 s9, s8
	s_cbranch_execz .LBB4_29
.LBB4_33:                               ;   in Loop: Header=BB4_30 Depth=1
	s_sleep 1
	s_trap 2
	ds_load_b64 v[2:3], v0
	s_wait_dscnt 0x0
	s_and_not1_b32 s6, s6, exec_lo
	v_cmp_ge_u64_e32 vcc_lo, v[2:3], v[0:1]
	s_or_not1_b32 s10, vcc_lo, exec_lo
	s_branch .LBB4_29
.LBB4_34:
	v_dual_mov_b32 v55, 0 :: v_dual_bitop2_b32 v1, 31, v31 bitop3:0x40
	v_add_nc_u64_e32 v[2:3], v[68:69], v[4:5]
	s_ashr_i32 s1, s2, 31
	s_ashr_i32 s11, s10, 31
	s_delay_alu instid0(VALU_DEP_2)
	v_mov_b32_e32 v85, v55
	v_cmp_eq_u32_e64 s5, 0, v1
	v_and_b32_e32 v1, 1, v86
	s_lshr_b32 s1, s1, 29
	v_add_nc_u64_e32 v[68:69], v[2:3], v[18:19]
	v_add_nc_u64_e32 v[2:3], v[24:25], v[10:11]
	v_dual_mov_b32 v83, v55 :: v_dual_lshlrev_b32 v84, 3, v0
	v_cmp_eq_u32_e64 s6, 1, v1
	v_dual_mov_b32 v1, v55 :: v_dual_mov_b32 v21, v55
	s_add_co_i32 s2, s2, s1
	v_mov_b64_e32 v[80:81], 0
	s_ashr_i32 s4, s2, 3
	s_ashr_i32 s14, s2, 7
	s_lshl_b64 s[2:3], s[10:11], 2
	v_cmp_ne_u64_e64 s1, 0, v[50:51]
	v_add_nc_u64_e32 v[70:71], s[2:3], v[22:23]
	s_wait_dscnt 0x0
	v_cmp_ne_u64_e64 s2, 0, v[12:13]
	v_add_nc_u64_e32 v[96:97], v[10:11], v[84:85]
	v_cmp_ne_u64_e64 s7, 0, v[48:49]
	v_add_nc_u64_e32 v[8:9], v[8:9], v[84:85]
	v_add_nc_u64_e32 v[98:99], v[2:3], v[84:85]
	v_lshlrev_b64_e32 v[102:103], 4, v[20:21]
	v_mov_b64_e32 v[52:53], 0
	v_and_b32_e32 v66, 0x1fffff0, v54
	v_dual_mov_b32 v67, v55 :: v_dual_lshrrev_b32 v82, 5, v20
	s_and_b32 s11, s4, -16
	v_cmp_ne_u32_e64 s3, 32, v20
	v_cmp_ne_u32_e64 s4, v20, v30
	v_dual_mov_b32 v87, v55 :: v_dual_lshlrev_b32 v86, 3, v20
	v_lshlrev_b32_e32 v56, 6, v20
	v_lshl_add_u64 v[100:101], v[0:1], 4, v[36:37]
	v_dual_mov_b32 v1, 1 :: v_dual_mov_b32 v21, 0
	s_cmp_gt_i32 s10, 2
	s_mov_b32 s15, 0
	s_cselect_b32 s16, -1, 0
	s_branch .LBB4_36
.LBB4_35:                               ;   in Loop: Header=BB4_36 Depth=1
	s_wait_xcnt 0x0
	s_or_b32 exec_lo, exec_lo, s8
	v_add_nc_u64_e32 v[80:81], v[80:81], v[66:67]
	v_add_nc_u64_e32 v[34:35], 1, v[34:35]
	v_add_nc_u64_e32 v[98:99], v[98:99], v[66:67]
	s_delay_alu instid0(VALU_DEP_3) | instskip(SKIP_1) | instid1(SALU_CYCLE_1)
	v_cmp_ge_u64_e32 vcc_lo, v[80:81], v[6:7]
	s_or_b32 s15, vcc_lo, s15
	s_and_not1_b32 exec_lo, exec_lo, s15
	s_cbranch_execz .LBB4_1023
.LBB4_36:                               ; =>This Loop Header: Depth=1
                                        ;     Child Loop BB4_41 Depth 2
                                        ;     Child Loop BB4_60 Depth 2
	;; [unrolled: 1-line block ×5, first 2 shown]
                                        ;       Child Loop BB4_90 Depth 3
                                        ;       Child Loop BB4_109 Depth 3
	;; [unrolled: 1-line block ×3, first 2 shown]
                                        ;         Child Loop BB4_137 Depth 4
                                        ;       Child Loop BB4_553 Depth 3
                                        ;       Child Loop BB4_126 Depth 3
                                        ;     Child Loop BB4_569 Depth 2
                                        ;       Child Loop BB4_577 Depth 3
                                        ;     Child Loop BB4_1011 Depth 2
	s_wait_loadcnt_dscnt 0x0
	flat_load_b32 v19, v[70:71] offset:-4
	v_sub_nc_u64_e32 v[2:3], v[6:7], v[80:81]
	s_delay_alu instid0(VALU_DEP_1) | instskip(NEXT) | instid1(VALU_DEP_1)
	v_min_u64 v[2:3], v[66:67], v[2:3]
	v_lshl_add_u32 v3, v2, 1, 14
	s_delay_alu instid0(VALU_DEP_1)
	v_and_b32_e32 v58, 0x7fffff0, v3
	s_wait_xcnt 0x0
	s_and_saveexec_b32 s9, s1
	s_cbranch_execz .LBB4_52
; %bb.37:                               ;   in Loop: Header=BB4_36 Depth=1
	v_add_nc_u64_e32 v[4:5], 1, v[14:15]
	v_add_nc_u64_e32 v[112:113], 8, v[64:65]
	s_mov_b32 s17, exec_lo
	s_delay_alu instid0(VALU_DEP_1)
	v_cmpx_lt_u64_e64 v[112:113], v[4:5]
	s_cbranch_execz .LBB4_49
; %bb.38:                               ;   in Loop: Header=BB4_36 Depth=1
	s_mov_b32 s18, 0
	s_mov_b32 s22, 0
	v_cmp_eq_u32_e32 vcc_lo, 0, v21
                                        ; implicit-def: $sgpr19
                                        ; implicit-def: $sgpr20
                                        ; implicit-def: $sgpr21
	s_branch .LBB4_41
.LBB4_39:                               ;   in Loop: Header=BB4_41 Depth=2
	s_or_b32 exec_lo, exec_lo, s27
	s_delay_alu instid0(SALU_CYCLE_1)
	s_and_not1_b32 s8, s21, exec_lo
	s_and_b32 s21, s25, exec_lo
	s_and_not1_b32 s20, s20, exec_lo
	s_and_b32 s24, s24, exec_lo
	s_or_b32 s21, s8, s21
	s_or_b32 s20, s20, s24
.LBB4_40:                               ;   in Loop: Header=BB4_41 Depth=2
	s_or_b32 exec_lo, exec_lo, s23
	s_delay_alu instid0(SALU_CYCLE_1) | instskip(NEXT) | instid1(SALU_CYCLE_1)
	s_and_b32 s8, exec_lo, s20
	s_or_b32 s18, s8, s18
	s_and_not1_b32 s8, s19, exec_lo
	s_and_b32 s19, s21, exec_lo
	s_delay_alu instid0(SALU_CYCLE_1)
	s_or_b32 s19, s8, s19
	s_and_not1_b32 exec_lo, exec_lo, s18
	s_cbranch_execz .LBB4_46
.LBB4_41:                               ;   Parent Loop BB4_36 Depth=1
                                        ; =>  This Inner Loop Header: Depth=2
	s_sleep 1
	s_wait_loadcnt_dscnt 0x0
	flat_load_b64 v[64:65], v[50:51] scope:SCOPE_DEV
	v_mov_b32_e32 v21, 1
	s_or_b32 s21, s21, exec_lo
	s_or_b32 s20, s20, exec_lo
                                        ; implicit-def: $vgpr3
	s_wait_xcnt 0x0
	s_and_saveexec_b32 s23, vcc_lo
	s_cbranch_execz .LBB4_40
; %bb.42:                               ;   in Loop: Header=BB4_41 Depth=2
	s_add_co_i32 s22, s22, 1
	s_mov_b32 s24, -1
	s_cmp_lg_u32 s22, 0x2710
	s_mov_b32 s25, -1
	s_cselect_b32 s26, -1, 0
	s_cmp_eq_u32 s22, 0x2710
                                        ; implicit-def: $vgpr3
	s_cbranch_scc1 .LBB4_44
; %bb.43:                               ;   in Loop: Header=BB4_41 Depth=2
	v_mov_b32_e32 v21, 1
	s_and_saveexec_b32 s27, s26
	s_cbranch_execz .LBB4_39
	s_branch .LBB4_45
.LBB4_44:                               ;   in Loop: Header=BB4_41 Depth=2
	s_trap 2
	ds_load_b64 v[112:113], v0
	s_and_not1_b32 s22, s26, exec_lo
	s_mov_b32 s25, 0
	s_wait_storecnt 0x0
	s_wait_loadcnt_dscnt 0x0
	flat_load_b32 v3, v[112:113] scope:SCOPE_SYS
	s_wait_loadcnt_dscnt 0x0
	global_inv scope:SCOPE_SYS
	v_cmp_eq_u32_e64 s8, 0, v3
	s_and_b32 s8, s8, exec_lo
	s_delay_alu instid0(SALU_CYCLE_1)
	s_or_b32 s26, s22, s8
	s_mov_b32 s22, 0
	v_mov_b32_e32 v21, 1
	s_and_saveexec_b32 s27, s26
	s_cbranch_execz .LBB4_39
.LBB4_45:                               ;   in Loop: Header=BB4_41 Depth=2
	s_wait_loadcnt_dscnt 0x0
	v_add_nc_u64_e32 v[112:113], 8, v[64:65]
	v_mov_b32_e32 v21, 0
	s_or_b32 s25, s25, exec_lo
	s_delay_alu instid0(VALU_DEP_2)
	v_cmp_ge_u64_e64 s8, v[112:113], v[4:5]
	s_or_not1_b32 s24, s8, exec_lo
	s_branch .LBB4_39
.LBB4_46:                               ;   in Loop: Header=BB4_36 Depth=1
	s_or_b32 exec_lo, exec_lo, s18
	s_xor_b32 s8, s19, -1
	s_delay_alu instid0(SALU_CYCLE_1) | instskip(NEXT) | instid1(SALU_CYCLE_1)
	s_and_saveexec_b32 s18, s8
	s_xor_b32 s8, exec_lo, s18
	s_cbranch_execz .LBB4_48
; %bb.47:                               ;   in Loop: Header=BB4_36 Depth=1
	v_mov_b32_e32 v21, 1
	s_wait_storecnt 0x0
	s_wait_loadcnt_dscnt 0x0
	ds_store_b32 v0, v3
	s_trap 2
.LBB4_48:                               ;   in Loop: Header=BB4_36 Depth=1
	s_or_b32 exec_lo, exec_lo, s8
.LBB4_49:                               ;   in Loop: Header=BB4_36 Depth=1
	s_delay_alu instid0(SALU_CYCLE_1)
	s_or_b32 exec_lo, exec_lo, s17
	s_and_saveexec_b32 s8, s2
	s_cbranch_execz .LBB4_51
; %bb.50:                               ;   in Loop: Header=BB4_36 Depth=1
	v_and_b32_e32 v54, 0x7ffffff8, v14
	s_delay_alu instid0(VALU_DEP_1) | instskip(SKIP_1) | instid1(VALU_DEP_1)
	v_cmp_eq_u64_e32 vcc_lo, 0x7ffffff8, v[54:55]
	v_cndmask_b32_e64 v112, v58, s11, vcc_lo
	v_dual_ashrrev_i32 v113, 31, v112 :: v_dual_bitop2_b32 v3, 7, v14 bitop3:0x40
	s_delay_alu instid0(VALU_DEP_1)
	v_mad_nc_u64_u32 v[14:15], v3, 24, v[12:13]
	flat_store_b64 v[14:15], v[112:113] offset:8 scope:SCOPE_SYS
	s_wait_storecnt 0x0
.LBB4_51:                               ;   in Loop: Header=BB4_36 Depth=1
	s_wait_xcnt 0x0
	s_or_b32 exec_lo, exec_lo, s8
	v_mov_b64_e32 v[14:15], v[4:5]
.LBB4_52:                               ;   in Loop: Header=BB4_36 Depth=1
	s_or_b32 exec_lo, exec_lo, s9
	s_and_saveexec_b32 s8, s3
	s_cbranch_execz .LBB4_71
; %bb.53:                               ;   in Loop: Header=BB4_36 Depth=1
	s_and_saveexec_b32 s9, s4
	s_delay_alu instid0(SALU_CYCLE_1)
	s_xor_b32 s9, exec_lo, s9
	s_cbranch_execz .LBB4_68
; %bb.54:                               ;   in Loop: Header=BB4_36 Depth=1
	s_and_saveexec_b32 s17, s5
	s_cbranch_execz .LBB4_67
; %bb.55:                               ;   in Loop: Header=BB4_36 Depth=1
	s_mov_b32 s19, exec_lo
	s_mov_b32 s18, exec_lo
	v_mbcnt_lo_u32_b32 v3, s19, 0
	global_wb scope:SCOPE_DEV
	s_wait_storecnt 0x0
	s_wait_loadcnt_dscnt 0x0
	global_inv scope:SCOPE_DEV
	v_cmpx_eq_u32_e32 0, v3
	s_cbranch_execz .LBB4_57
; %bb.56:                               ;   in Loop: Header=BB4_36 Depth=1
	s_bcnt1_i32_b32 s19, s19
	s_delay_alu instid0(SALU_CYCLE_1)
	v_mov_b32_e32 v54, s19
	s_wait_loadcnt 0x0
	ds_add_u64 v0, v[54:55]
	s_trap 2
.LBB4_57:                               ;   in Loop: Header=BB4_36 Depth=1
	s_or_b32 exec_lo, exec_lo, s18
	s_trap 2
	ds_load_b64 v[4:5], v0
	s_wait_dscnt 0x0
	v_add_nc_u64_e32 v[52:53], v[52:53], v[82:83]
	s_mov_b32 s18, exec_lo
	s_delay_alu instid0(VALU_DEP_1)
	v_cmpx_lt_u64_e64 v[4:5], v[52:53]
	s_cbranch_execz .LBB4_66
; %bb.58:                               ;   in Loop: Header=BB4_36 Depth=1
	s_mov_b32 s19, 0
	s_mov_b32 s22, 0
                                        ; implicit-def: $sgpr20
                                        ; implicit-def: $sgpr21
	s_branch .LBB4_60
.LBB4_59:                               ;   in Loop: Header=BB4_60 Depth=2
	s_or_b32 exec_lo, exec_lo, s24
	s_delay_alu instid0(SALU_CYCLE_1) | instskip(NEXT) | instid1(SALU_CYCLE_1)
	s_and_b32 s23, exec_lo, s25
	s_or_b32 s19, s23, s19
	s_and_not1_b32 s20, s20, exec_lo
	s_and_b32 s23, s21, exec_lo
	s_delay_alu instid0(SALU_CYCLE_1)
	s_or_b32 s20, s20, s23
	s_and_not1_b32 exec_lo, exec_lo, s19
	s_cbranch_execz .LBB4_64
.LBB4_60:                               ;   Parent Loop BB4_36 Depth=1
                                        ; =>  This Inner Loop Header: Depth=2
	s_add_co_i32 s22, s22, 1
	s_delay_alu instid0(SALU_CYCLE_1) | instskip(SKIP_1) | instid1(SALU_CYCLE_1)
	s_cmp_lg_u32 s22, 0x2710
	s_cselect_b32 s23, -1, 0
	s_and_b32 vcc_lo, exec_lo, s23
	s_cbranch_vccz .LBB4_62
; %bb.61:                               ;   in Loop: Header=BB4_60 Depth=2
	s_mov_b32 s25, -1
	s_or_b32 s21, s21, exec_lo
	s_and_saveexec_b32 s24, s23
	s_cbranch_execz .LBB4_59
	s_branch .LBB4_63
.LBB4_62:                               ;   in Loop: Header=BB4_60 Depth=2
	s_trap 2
	ds_load_b64 v[4:5], v0
	s_and_not1_b32 s23, s23, exec_lo
	s_mov_b32 s22, 0
	s_wait_loadcnt_dscnt 0x0
	flat_load_b32 v3, v[4:5] scope:SCOPE_SYS
	s_wait_loadcnt_dscnt 0x0
	global_inv scope:SCOPE_SYS
	v_cmp_eq_u32_e32 vcc_lo, 0, v3
	s_and_b32 s24, vcc_lo, exec_lo
	s_delay_alu instid0(SALU_CYCLE_1)
	s_or_b32 s23, s23, s24
	s_mov_b32 s25, -1
	s_or_b32 s21, s21, exec_lo
	s_and_saveexec_b32 s24, s23
	s_cbranch_execz .LBB4_59
.LBB4_63:                               ;   in Loop: Header=BB4_60 Depth=2
	s_sleep 1
	s_trap 2
	ds_load_b64 v[4:5], v0
	s_wait_dscnt 0x0
	s_and_not1_b32 s21, s21, exec_lo
	v_cmp_ge_u64_e32 vcc_lo, v[4:5], v[52:53]
	s_or_not1_b32 s25, vcc_lo, exec_lo
	s_branch .LBB4_59
.LBB4_64:                               ;   in Loop: Header=BB4_36 Depth=1
	s_or_b32 exec_lo, exec_lo, s19
	s_and_saveexec_b32 s19, s20
	s_delay_alu instid0(SALU_CYCLE_1)
	s_xor_b32 s19, exec_lo, s19
	s_cbranch_execz .LBB4_66
; %bb.65:                               ;   in Loop: Header=BB4_36 Depth=1
	ds_store_b32 v0, v1
	s_trap 2
.LBB4_66:                               ;   in Loop: Header=BB4_36 Depth=1
	s_or_b32 exec_lo, exec_lo, s18
	;;#ASMSTART
	s_wakeup
	;;#ASMEND
.LBB4_67:                               ;   in Loop: Header=BB4_36 Depth=1
	s_or_b32 exec_lo, exec_lo, s17
.LBB4_68:                               ;   in Loop: Header=BB4_36 Depth=1
	s_and_not1_saveexec_b32 s9, s9
	s_cbranch_execz .LBB4_70
; %bb.69:                               ;   in Loop: Header=BB4_36 Depth=1
	global_wb scope:SCOPE_DEV
	s_wait_storecnt 0x0
	s_wait_loadcnt_dscnt 0x0
	global_inv scope:SCOPE_DEV
	s_barrier_signal -1
	s_barrier_wait -1
.LBB4_70:                               ;   in Loop: Header=BB4_36 Depth=1
	s_or_b32 exec_lo, exec_lo, s9
.LBB4_71:                               ;   in Loop: Header=BB4_36 Depth=1
	s_delay_alu instid0(SALU_CYCLE_1) | instskip(SKIP_2) | instid1(VALU_DEP_2)
	s_or_b32 exec_lo, exec_lo, s8
	v_dual_mov_b32 v18, v0 :: v_dual_sub_nc_u32 v57, v2, v84
	v_dual_add_nc_u32 v3, 1, v16 :: v_dual_bitop2_b32 v116, 7, v16 bitop3:0x40
	v_cmp_lt_i32_e64 s8, 0, v57
	s_and_saveexec_b32 s9, s8
	s_cbranch_execz .LBB4_79
; %bb.72:                               ;   in Loop: Header=BB4_36 Depth=1
	s_wait_loadcnt_dscnt 0x0
	v_mad_nc_u64_u32 v[112:113], v68, v19, v[98:99]
	v_mul_lo_u32 v4, v116, s14
	v_mul_lo_u32 v18, v68, v19
	v_mov_b32_e32 v117, v57
	s_mov_b32 s17, 0
	s_delay_alu instid0(VALU_DEP_4) | instskip(NEXT) | instid1(VALU_DEP_4)
	v_mad_u32 v2, v69, v19, v113
	v_dual_ashrrev_i32 v19, 31, v19 :: v_dual_ashrrev_i32 v5, 31, v4
	s_delay_alu instid0(VALU_DEP_1) | instskip(NEXT) | instid1(VALU_DEP_2)
	v_lshl_add_u64 v[114:115], v[4:5], 4, v[100:101]
	v_mad_u32 v113, v68, v19, v2
	v_add_lshl_u32 v19, v98, v18, 3
	v_mov_b32_e32 v18, v0
	s_branch .LBB4_74
.LBB4_73:                               ;   in Loop: Header=BB4_74 Depth=2
	s_wait_xcnt 0x0
	s_or_b32 exec_lo, exec_lo, s18
	s_wait_loadcnt 0x0
	v_alignbit_b32 v2, v119, v2, v19
	v_alignbit_b32 v4, v118, v119, v19
	v_dual_mov_b32 v5, v3 :: v_dual_sub_nc_u32 v117, v117, v86
	v_add_nc_u64_e32 v[112:113], v[112:113], v[86:87]
	v_add_nc_u32_e32 v18, v18, v20
	v_add_nc_u32_e32 v19, v19, v56
	global_store_b128 v[114:115], v[2:5], off
	v_cmp_gt_i32_e32 vcc_lo, 1, v117
	s_wait_xcnt 0x0
	v_add_nc_u64_e32 v[114:115], v[114:115], v[102:103]
	s_or_b32 s17, vcc_lo, s17
	s_delay_alu instid0(SALU_CYCLE_1)
	s_and_not1_b32 exec_lo, exec_lo, s17
	s_cbranch_execz .LBB4_78
.LBB4_74:                               ;   Parent Loop BB4_36 Depth=1
                                        ; =>  This Inner Loop Header: Depth=2
	s_delay_alu instid0(VALU_DEP_3)
	v_dual_mov_b32 v5, v113 :: v_dual_bitop2_b32 v4, -4, v112 bitop3:0x40
	v_min_u32_e32 v54, 8, v117
	v_dual_mov_b32 v119, 0 :: v_dual_bitop2_b32 v118, 3, v112 bitop3:0x40
	s_mov_b32 s18, exec_lo
	global_load_b32 v2, v[4:5], off th:TH_LOAD_NT
	v_dual_add_nc_u32 v54, v118, v54 :: v_dual_mov_b32 v118, 0
	s_wait_xcnt 0x0
	s_delay_alu instid0(VALU_DEP_1)
	v_cmpx_lt_u32_e32 4, v54
	s_cbranch_execz .LBB4_76
; %bb.75:                               ;   in Loop: Header=BB4_74 Depth=2
	global_load_b32 v119, v[4:5], off offset:4 th:TH_LOAD_NT
.LBB4_76:                               ;   in Loop: Header=BB4_74 Depth=2
	s_wait_xcnt 0x0
	s_or_b32 exec_lo, exec_lo, s18
	s_delay_alu instid0(SALU_CYCLE_1)
	s_mov_b32 s18, exec_lo
	v_cmpx_lt_u64_e32 8, v[54:55]
	s_cbranch_execz .LBB4_73
; %bb.77:                               ;   in Loop: Header=BB4_74 Depth=2
	global_load_b32 v118, v[4:5], off offset:8 th:TH_LOAD_NT
	s_branch .LBB4_73
.LBB4_78:                               ;   in Loop: Header=BB4_36 Depth=1
	s_or_b32 exec_lo, exec_lo, s17
.LBB4_79:                               ;   in Loop: Header=BB4_36 Depth=1
	s_delay_alu instid0(SALU_CYCLE_1) | instskip(SKIP_2) | instid1(VALU_DEP_2)
	s_or_b32 exec_lo, exec_lo, s9
	v_and_b32_e32 v54, 0x7ffffff8, v16
	v_cmp_gt_i32_e64 s9, s14, v18
	v_cmp_eq_u64_e32 vcc_lo, 0x7ffffff8, v[54:55]
	s_and_b32 s17, vcc_lo, s9
	s_delay_alu instid0(SALU_CYCLE_1)
	s_and_saveexec_b32 s9, s17
	s_cbranch_execz .LBB4_82
; %bb.80:                               ;   in Loop: Header=BB4_36 Depth=1
	v_mul_lo_u32 v4, v116, s14
	v_mov_b32_e32 v2, v55
	s_mov_b32 s17, 0
	s_wait_loadcnt_dscnt 0x0
	s_delay_alu instid0(VALU_DEP_2) | instskip(NEXT) | instid1(VALU_DEP_1)
	v_dual_ashrrev_i32 v19, 31, v18 :: v_dual_ashrrev_i32 v5, 31, v4
	v_lshlrev_b64_e32 v[4:5], 4, v[4:5]
	s_delay_alu instid0(VALU_DEP_1) | instskip(NEXT) | instid1(VALU_DEP_1)
	v_lshl_add_u64 v[4:5], v[18:19], 4, v[4:5]
	v_add_nc_u64_e32 v[112:113], v[36:37], v[4:5]
.LBB4_81:                               ;   Parent Loop BB4_36 Depth=1
                                        ; =>  This Inner Loop Header: Depth=2
	v_dual_mov_b32 v4, v2 :: v_dual_mov_b32 v5, v3
	v_add_nc_u32_e32 v18, v18, v20
	global_store_b128 v[112:113], v[2:5], off
	v_cmp_le_i32_e32 vcc_lo, s14, v18
	s_wait_xcnt 0x0
	v_add_nc_u64_e32 v[112:113], v[112:113], v[102:103]
	s_or_b32 s17, vcc_lo, s17
	s_delay_alu instid0(SALU_CYCLE_1)
	s_and_not1_b32 exec_lo, exec_lo, s17
	s_cbranch_execnz .LBB4_81
.LBB4_82:                               ;   in Loop: Header=BB4_36 Depth=1
	s_or_b32 exec_lo, exec_lo, s9
	v_add_nc_u64_e32 v[112:113], v[80:81], v[24:25]
	v_add_nc_u64_e32 v[114:115], 1, v[16:17]
	s_and_not1_b32 vcc_lo, exec_lo, s16
	s_cbranch_vccnz .LBB4_564
; %bb.83:                               ;   in Loop: Header=BB4_36 Depth=1
	s_delay_alu instid0(VALU_DEP_2)
	v_add_nc_u64_e32 v[116:117], v[96:97], v[112:113]
	v_add_nc_u16 v59, v16, 1
	s_mov_b32 s17, 2
	s_branch .LBB4_85
.LBB4_84:                               ;   in Loop: Header=BB4_85 Depth=2
	s_or_b32 exec_lo, exec_lo, s9
	v_add_nc_u64_e32 v[34:35], 1, v[34:35]
	v_add_nc_u64_e32 v[114:115], 1, v[114:115]
	v_add_nc_u16 v59, v59, 1
	s_add_co_i32 s17, s17, 1
	s_delay_alu instid0(SALU_CYCLE_1)
	s_cmp_eq_u32 s17, s10
	s_cbranch_scc1 .LBB4_564
.LBB4_85:                               ;   Parent Loop BB4_36 Depth=1
                                        ; =>  This Loop Header: Depth=2
                                        ;       Child Loop BB4_90 Depth 3
                                        ;       Child Loop BB4_109 Depth 3
                                        ;       Child Loop BB4_129 Depth 3
                                        ;         Child Loop BB4_137 Depth 4
                                        ;       Child Loop BB4_553 Depth 3
                                        ;       Child Loop BB4_126 Depth 3
	s_sub_co_i32 s9, s10, s17
	v_readfirstlane_b32 s18, v22
	v_mov_b32_e32 v2, s9
	v_readfirstlane_b32 s19, v23
	flat_load_b32 v4, v2, s[18:19] scale_offset
	s_wait_xcnt 0x0
	s_and_saveexec_b32 s18, s1
	s_cbranch_execz .LBB4_101
; %bb.86:                               ;   in Loop: Header=BB4_85 Depth=2
	v_add_nc_u64_e32 v[2:3], 1, v[14:15]
	s_wait_loadcnt_dscnt 0x101
	v_add_nc_u64_e32 v[16:17], 8, v[64:65]
	s_mov_b32 s19, exec_lo
	s_delay_alu instid0(VALU_DEP_1)
	v_cmpx_lt_u64_e64 v[16:17], v[2:3]
	s_cbranch_execz .LBB4_98
; %bb.87:                               ;   in Loop: Header=BB4_85 Depth=2
	s_mov_b32 s20, 0
	s_mov_b32 s24, 0
	v_cmp_eq_u32_e32 vcc_lo, 0, v21
                                        ; implicit-def: $sgpr21
                                        ; implicit-def: $sgpr22
                                        ; implicit-def: $sgpr23
	s_branch .LBB4_90
.LBB4_88:                               ;   in Loop: Header=BB4_90 Depth=3
	s_or_b32 exec_lo, exec_lo, s29
	s_delay_alu instid0(SALU_CYCLE_1)
	s_and_not1_b32 s9, s23, exec_lo
	s_and_b32 s23, s27, exec_lo
	s_and_not1_b32 s22, s22, exec_lo
	s_and_b32 s26, s26, exec_lo
	s_or_b32 s23, s9, s23
	s_or_b32 s22, s22, s26
.LBB4_89:                               ;   in Loop: Header=BB4_90 Depth=3
	s_or_b32 exec_lo, exec_lo, s25
	s_delay_alu instid0(SALU_CYCLE_1) | instskip(NEXT) | instid1(SALU_CYCLE_1)
	s_and_b32 s9, exec_lo, s22
	s_or_b32 s20, s9, s20
	s_and_not1_b32 s9, s21, exec_lo
	s_and_b32 s21, s23, exec_lo
	s_delay_alu instid0(SALU_CYCLE_1)
	s_or_b32 s21, s9, s21
	s_and_not1_b32 exec_lo, exec_lo, s20
	s_cbranch_execz .LBB4_95
.LBB4_90:                               ;   Parent Loop BB4_36 Depth=1
                                        ;     Parent Loop BB4_85 Depth=2
                                        ; =>    This Inner Loop Header: Depth=3
	s_sleep 1
	s_wait_loadcnt_dscnt 0x0
	flat_load_b64 v[64:65], v[50:51] scope:SCOPE_DEV
	v_mov_b32_e32 v21, 1
	s_or_b32 s23, s23, exec_lo
	s_or_b32 s22, s22, exec_lo
                                        ; implicit-def: $vgpr5
	s_wait_xcnt 0x0
	s_and_saveexec_b32 s25, vcc_lo
	s_cbranch_execz .LBB4_89
; %bb.91:                               ;   in Loop: Header=BB4_90 Depth=3
	s_add_co_i32 s24, s24, 1
	s_mov_b32 s26, -1
	s_cmp_lg_u32 s24, 0x2710
	s_mov_b32 s27, -1
	s_cselect_b32 s28, -1, 0
	s_cmp_eq_u32 s24, 0x2710
                                        ; implicit-def: $vgpr5
	s_cbranch_scc1 .LBB4_93
; %bb.92:                               ;   in Loop: Header=BB4_90 Depth=3
	v_mov_b32_e32 v21, 1
	s_and_saveexec_b32 s29, s28
	s_cbranch_execz .LBB4_88
	s_branch .LBB4_94
.LBB4_93:                               ;   in Loop: Header=BB4_90 Depth=3
	s_trap 2
	ds_load_b64 v[16:17], v0
	s_and_not1_b32 s24, s28, exec_lo
	s_mov_b32 s27, 0
	s_wait_storecnt 0x0
	s_wait_loadcnt_dscnt 0x0
	flat_load_b32 v5, v[16:17] scope:SCOPE_SYS
	s_wait_loadcnt_dscnt 0x0
	global_inv scope:SCOPE_SYS
	v_cmp_eq_u32_e64 s9, 0, v5
	s_and_b32 s9, s9, exec_lo
	s_delay_alu instid0(SALU_CYCLE_1)
	s_or_b32 s28, s24, s9
	s_mov_b32 s24, 0
	v_mov_b32_e32 v21, 1
	s_and_saveexec_b32 s29, s28
	s_cbranch_execz .LBB4_88
.LBB4_94:                               ;   in Loop: Header=BB4_90 Depth=3
	s_wait_loadcnt_dscnt 0x0
	v_add_nc_u64_e32 v[16:17], 8, v[64:65]
	v_mov_b32_e32 v21, 0
	s_or_b32 s27, s27, exec_lo
	s_delay_alu instid0(VALU_DEP_2)
	v_cmp_ge_u64_e64 s9, v[16:17], v[2:3]
	s_or_not1_b32 s26, s9, exec_lo
	s_branch .LBB4_88
.LBB4_95:                               ;   in Loop: Header=BB4_85 Depth=2
	s_or_b32 exec_lo, exec_lo, s20
	s_xor_b32 s9, s21, -1
	s_delay_alu instid0(SALU_CYCLE_1) | instskip(NEXT) | instid1(SALU_CYCLE_1)
	s_and_saveexec_b32 s20, s9
	s_xor_b32 s9, exec_lo, s20
	s_cbranch_execz .LBB4_97
; %bb.96:                               ;   in Loop: Header=BB4_85 Depth=2
	v_mov_b32_e32 v21, 1
	s_wait_storecnt 0x0
	s_wait_loadcnt_dscnt 0x0
	ds_store_b32 v0, v5
	s_trap 2
.LBB4_97:                               ;   in Loop: Header=BB4_85 Depth=2
	s_or_b32 exec_lo, exec_lo, s9
.LBB4_98:                               ;   in Loop: Header=BB4_85 Depth=2
	s_delay_alu instid0(SALU_CYCLE_1)
	s_or_b32 exec_lo, exec_lo, s19
	s_and_saveexec_b32 s9, s2
	s_cbranch_execz .LBB4_100
; %bb.99:                               ;   in Loop: Header=BB4_85 Depth=2
	v_and_b32_e32 v54, 0x7ffffff8, v14
	s_delay_alu instid0(VALU_DEP_1) | instskip(SKIP_1) | instid1(VALU_DEP_1)
	v_cmp_eq_u64_e32 vcc_lo, 0x7ffffff8, v[54:55]
	v_cndmask_b32_e64 v16, v58, s11, vcc_lo
	v_dual_ashrrev_i32 v17, 31, v16 :: v_dual_bitop2_b32 v5, 7, v14 bitop3:0x40
	s_delay_alu instid0(VALU_DEP_1)
	v_mad_nc_u64_u32 v[14:15], v5, 24, v[12:13]
	flat_store_b64 v[14:15], v[16:17] offset:8 scope:SCOPE_SYS
	s_wait_storecnt 0x0
.LBB4_100:                              ;   in Loop: Header=BB4_85 Depth=2
	s_wait_xcnt 0x0
	s_or_b32 exec_lo, exec_lo, s9
	v_mov_b64_e32 v[14:15], v[2:3]
.LBB4_101:                              ;   in Loop: Header=BB4_85 Depth=2
	s_or_b32 exec_lo, exec_lo, s18
	s_and_saveexec_b32 s9, s3
	s_cbranch_execz .LBB4_120
; %bb.102:                              ;   in Loop: Header=BB4_85 Depth=2
	s_and_saveexec_b32 s18, s4
	s_delay_alu instid0(SALU_CYCLE_1)
	s_xor_b32 s18, exec_lo, s18
	s_cbranch_execz .LBB4_117
; %bb.103:                              ;   in Loop: Header=BB4_85 Depth=2
	s_and_saveexec_b32 s19, s5
	s_cbranch_execz .LBB4_116
; %bb.104:                              ;   in Loop: Header=BB4_85 Depth=2
	s_mov_b32 s21, exec_lo
	s_mov_b32 s20, exec_lo
	v_mbcnt_lo_u32_b32 v2, s21, 0
	global_wb scope:SCOPE_DEV
	s_wait_storecnt 0x0
	s_wait_loadcnt_dscnt 0x0
	global_inv scope:SCOPE_DEV
	v_cmpx_eq_u32_e32 0, v2
	s_cbranch_execz .LBB4_106
; %bb.105:                              ;   in Loop: Header=BB4_85 Depth=2
	s_bcnt1_i32_b32 s21, s21
	s_delay_alu instid0(SALU_CYCLE_1)
	v_mov_b32_e32 v54, s21
	s_wait_loadcnt 0x0
	ds_add_u64 v0, v[54:55]
	s_trap 2
.LBB4_106:                              ;   in Loop: Header=BB4_85 Depth=2
	s_or_b32 exec_lo, exec_lo, s20
	s_trap 2
	ds_load_b64 v[2:3], v0
	s_wait_dscnt 0x0
	v_add_nc_u64_e32 v[52:53], v[52:53], v[82:83]
	s_mov_b32 s20, exec_lo
	s_delay_alu instid0(VALU_DEP_1)
	v_cmpx_lt_u64_e64 v[2:3], v[52:53]
	s_cbranch_execz .LBB4_115
; %bb.107:                              ;   in Loop: Header=BB4_85 Depth=2
	s_mov_b32 s21, 0
	s_mov_b32 s24, 0
                                        ; implicit-def: $sgpr22
                                        ; implicit-def: $sgpr23
	s_branch .LBB4_109
.LBB4_108:                              ;   in Loop: Header=BB4_109 Depth=3
	s_or_b32 exec_lo, exec_lo, s26
	s_delay_alu instid0(SALU_CYCLE_1) | instskip(NEXT) | instid1(SALU_CYCLE_1)
	s_and_b32 s25, exec_lo, s27
	s_or_b32 s21, s25, s21
	s_and_not1_b32 s22, s22, exec_lo
	s_and_b32 s25, s23, exec_lo
	s_delay_alu instid0(SALU_CYCLE_1)
	s_or_b32 s22, s22, s25
	s_and_not1_b32 exec_lo, exec_lo, s21
	s_cbranch_execz .LBB4_113
.LBB4_109:                              ;   Parent Loop BB4_36 Depth=1
                                        ;     Parent Loop BB4_85 Depth=2
                                        ; =>    This Inner Loop Header: Depth=3
	s_add_co_i32 s24, s24, 1
	s_delay_alu instid0(SALU_CYCLE_1) | instskip(SKIP_1) | instid1(SALU_CYCLE_1)
	s_cmp_lg_u32 s24, 0x2710
	s_cselect_b32 s25, -1, 0
	s_and_b32 vcc_lo, exec_lo, s25
	s_cbranch_vccz .LBB4_111
; %bb.110:                              ;   in Loop: Header=BB4_109 Depth=3
	s_mov_b32 s27, -1
	s_or_b32 s23, s23, exec_lo
	s_and_saveexec_b32 s26, s25
	s_cbranch_execz .LBB4_108
	s_branch .LBB4_112
.LBB4_111:                              ;   in Loop: Header=BB4_109 Depth=3
	s_trap 2
	ds_load_b64 v[2:3], v0
	s_and_not1_b32 s25, s25, exec_lo
	s_mov_b32 s24, 0
	s_wait_loadcnt_dscnt 0x0
	flat_load_b32 v2, v[2:3] scope:SCOPE_SYS
	s_wait_loadcnt_dscnt 0x0
	global_inv scope:SCOPE_SYS
	v_cmp_eq_u32_e32 vcc_lo, 0, v2
	s_and_b32 s26, vcc_lo, exec_lo
	s_delay_alu instid0(SALU_CYCLE_1)
	s_or_b32 s25, s25, s26
	s_mov_b32 s27, -1
	s_or_b32 s23, s23, exec_lo
	s_and_saveexec_b32 s26, s25
	s_cbranch_execz .LBB4_108
.LBB4_112:                              ;   in Loop: Header=BB4_109 Depth=3
	s_sleep 1
	s_trap 2
	ds_load_b64 v[2:3], v0
	s_wait_dscnt 0x0
	s_and_not1_b32 s23, s23, exec_lo
	v_cmp_ge_u64_e32 vcc_lo, v[2:3], v[52:53]
	s_or_not1_b32 s27, vcc_lo, exec_lo
	s_branch .LBB4_108
.LBB4_113:                              ;   in Loop: Header=BB4_85 Depth=2
	s_or_b32 exec_lo, exec_lo, s21
	s_and_saveexec_b32 s21, s22
	s_delay_alu instid0(SALU_CYCLE_1)
	s_xor_b32 s21, exec_lo, s21
	s_cbranch_execz .LBB4_115
; %bb.114:                              ;   in Loop: Header=BB4_85 Depth=2
	ds_store_b32 v0, v1
	s_trap 2
.LBB4_115:                              ;   in Loop: Header=BB4_85 Depth=2
	s_or_b32 exec_lo, exec_lo, s20
	;;#ASMSTART
	s_wakeup
	;;#ASMEND
.LBB4_116:                              ;   in Loop: Header=BB4_85 Depth=2
	s_or_b32 exec_lo, exec_lo, s19
.LBB4_117:                              ;   in Loop: Header=BB4_85 Depth=2
	s_and_not1_saveexec_b32 s18, s18
	s_cbranch_execz .LBB4_119
; %bb.118:                              ;   in Loop: Header=BB4_85 Depth=2
	global_wb scope:SCOPE_DEV
	s_wait_storecnt 0x0
	s_wait_loadcnt_dscnt 0x0
	global_inv scope:SCOPE_DEV
	s_barrier_signal -1
	s_barrier_wait -1
.LBB4_119:                              ;   in Loop: Header=BB4_85 Depth=2
	s_or_b32 exec_lo, exec_lo, s18
.LBB4_120:                              ;   in Loop: Header=BB4_85 Depth=2
	s_delay_alu instid0(SALU_CYCLE_1)
	s_or_b32 exec_lo, exec_lo, s9
	v_dual_mov_b32 v54, v0 :: v_dual_add_nc_u32 v3, 1, v114
	s_and_saveexec_b32 s18, s8
	s_cbranch_execnz .LBB4_127
; %bb.121:                              ;   in Loop: Header=BB4_85 Depth=2
	s_or_b32 exec_lo, exec_lo, s18
	s_and_saveexec_b32 s9, s3
	s_cbranch_execnz .LBB4_546
.LBB4_122:                              ;   in Loop: Header=BB4_85 Depth=2
	s_or_b32 exec_lo, exec_lo, s9
	s_and_saveexec_b32 s9, s7
	s_cbranch_execz .LBB4_124
.LBB4_123:                              ;   in Loop: Header=BB4_85 Depth=2
	v_add_nc_u64_e32 v[38:39], 1, v[38:39]
	global_wb scope:SCOPE_SYS
	s_wait_storecnt 0x0
	s_wait_loadcnt_dscnt 0x0
	flat_store_b64 v[48:49], v[38:39] scope:SCOPE_SYS
.LBB4_124:                              ;   in Loop: Header=BB4_85 Depth=2
	s_wait_xcnt 0x0
	s_or_b32 exec_lo, exec_lo, s9
	s_wait_loadcnt_dscnt 0x0
	v_and_b32_e32 v4, 0x7ffffff8, v114
	v_mov_b32_e32 v5, v55
	v_cmp_gt_i32_e64 s9, s14, v54
	s_delay_alu instid0(VALU_DEP_2) | instskip(SKIP_1) | instid1(SALU_CYCLE_1)
	v_cmp_eq_u64_e32 vcc_lo, 0x7ffffff8, v[4:5]
	s_and_b32 s18, vcc_lo, s9
	s_and_saveexec_b32 s9, s18
	s_cbranch_execz .LBB4_84
; %bb.125:                              ;   in Loop: Header=BB4_85 Depth=2
	v_dual_ashrrev_i32 v17, 31, v54 :: v_dual_bitop2_b32 v2, 7, v59 bitop3:0x40
	v_mov_b32_e32 v16, v54
	s_mov_b32 s18, 0
	s_delay_alu instid0(VALU_DEP_2) | instskip(NEXT) | instid1(VALU_DEP_1)
	v_mul_lo_u32 v4, s14, v2
	v_dual_mov_b32 v2, v55 :: v_dual_ashrrev_i32 v5, 31, v4
	s_delay_alu instid0(VALU_DEP_1) | instskip(NEXT) | instid1(VALU_DEP_1)
	v_lshlrev_b64_e32 v[4:5], 4, v[4:5]
	v_lshl_add_u64 v[4:5], v[16:17], 4, v[4:5]
	s_delay_alu instid0(VALU_DEP_1)
	v_add_nc_u64_e32 v[16:17], v[36:37], v[4:5]
.LBB4_126:                              ;   Parent Loop BB4_36 Depth=1
                                        ;     Parent Loop BB4_85 Depth=2
                                        ; =>    This Inner Loop Header: Depth=3
	s_delay_alu instid0(VALU_DEP_4)
	v_dual_mov_b32 v4, v2 :: v_dual_mov_b32 v5, v3
	v_add_nc_u32_e32 v54, v54, v20
	global_store_b128 v[16:17], v[2:5], off
	v_cmp_le_i32_e32 vcc_lo, s14, v54
	s_wait_xcnt 0x0
	v_add_nc_u64_e32 v[16:17], v[16:17], v[102:103]
	s_or_b32 s18, vcc_lo, s18
	s_delay_alu instid0(SALU_CYCLE_1)
	s_and_not1_b32 exec_lo, exec_lo, s18
	s_cbranch_execnz .LBB4_126
	s_branch .LBB4_84
.LBB4_127:                              ;   in Loop: Header=BB4_85 Depth=2
	v_and_b32_e32 v2, 7, v34
	s_wait_loadcnt_dscnt 0x0
	v_mad_nc_u64_u32 v[118:119], v68, v4, v[116:117]
	v_dual_add_nc_u32 v60, 1, v34 :: v_dual_mov_b32 v54, v0
	s_mov_b32 s19, 0
	v_mul_lo_u32 v16, v2, s14
	v_dual_mov_b32 v61, v57 :: v_dual_bitop2_b32 v5, 7, v114 bitop3:0x40
	s_delay_alu instid0(VALU_DEP_4) | instskip(SKIP_1) | instid1(VALU_DEP_4)
	v_mad_u32 v2, v69, v4, v119
	v_ashrrev_i32_e32 v4, 31, v4
	v_ashrrev_i32_e32 v17, 31, v16
	s_delay_alu instid0(VALU_DEP_4) | instskip(NEXT) | instid1(VALU_DEP_2)
	v_mul_lo_u32 v18, v5, s14
	v_lshl_add_u64 v[40:41], v[16:17], 4, v[32:33]
	s_delay_alu instid0(VALU_DEP_4) | instskip(NEXT) | instid1(VALU_DEP_3)
	v_mad_u32 v119, v68, v4, v2
	v_ashrrev_i32_e32 v19, 31, v18
	s_delay_alu instid0(VALU_DEP_1)
	v_lshl_add_u64 v[42:43], v[18:19], 4, v[36:37]
	s_branch .LBB4_129
.LBB4_128:                              ;   in Loop: Header=BB4_129 Depth=3
	s_or_b32 exec_lo, exec_lo, s9
	v_dual_lshlrev_b32 v5, 8, v62 :: v_dual_lshlrev_b32 v17, 8, v72
	v_dual_lshlrev_b32 v16, 16, v46 :: v_dual_lshlrev_b32 v18, 16, v44
	;; [unrolled: 1-line block ×3, first 2 shown]
	v_sub_nc_u32_e32 v61, v61, v86
	s_delay_alu instid0(VALU_DEP_3) | instskip(NEXT) | instid1(VALU_DEP_4)
	v_or3_b32 v2, v5, v2, v16
	v_or3_b32 v5, v17, v63, v18
	v_add_nc_u64_e32 v[118:119], v[118:119], v[86:87]
	v_lshl_add_u64 v[16:17], v[54:55], 4, v[42:43]
	v_add_nc_u32_e32 v54, v54, v20
	v_or3_b32 v2, v2, v19, 0
	v_or3_b32 v4, v5, v4, 0
	v_mov_b32_e32 v5, v3
	v_cmp_gt_i32_e32 vcc_lo, 1, v61
	global_store_b128 v[16:17], v[2:5], off
	s_or_b32 s19, vcc_lo, s19
	s_wait_xcnt 0x0
	s_and_not1_b32 exec_lo, exec_lo, s19
	s_cbranch_execz .LBB4_545
.LBB4_129:                              ;   Parent Loop BB4_36 Depth=1
                                        ;     Parent Loop BB4_85 Depth=2
                                        ; =>    This Loop Header: Depth=3
                                        ;         Child Loop BB4_137 Depth 4
	s_delay_alu instid0(VALU_DEP_3)
	v_dual_mov_b32 v5, v119 :: v_dual_bitop2_b32 v4, -4, v118 bitop3:0x40
	v_min_u32_e32 v16, 8, v61
	v_dual_mov_b32 v63, 0 :: v_dual_bitop2_b32 v17, 3, v118 bitop3:0x40
	v_mov_b32_e32 v72, 0
	global_load_b32 v2, v[4:5], off th:TH_LOAD_NT
	s_mov_b32 s9, exec_lo
	v_add_nc_u32_e32 v16, v17, v16
	s_wait_xcnt 0x0
	s_delay_alu instid0(VALU_DEP_1)
	v_cmpx_lt_u32_e32 4, v16
	s_cbranch_execz .LBB4_131
; %bb.130:                              ;   in Loop: Header=BB4_129 Depth=3
	global_load_b32 v72, v[4:5], off offset:4 th:TH_LOAD_NT
.LBB4_131:                              ;   in Loop: Header=BB4_129 Depth=3
	s_wait_xcnt 0x0
	s_or_b32 exec_lo, exec_lo, s9
	v_mov_b32_e32 v17, v55
	s_mov_b32 s9, exec_lo
	s_delay_alu instid0(VALU_DEP_1)
	v_cmpx_lt_u64_e32 8, v[16:17]
	s_cbranch_execz .LBB4_133
; %bb.132:                              ;   in Loop: Header=BB4_129 Depth=3
	global_load_b32 v63, v[4:5], off offset:8 th:TH_LOAD_NT
.LBB4_133:                              ;   in Loop: Header=BB4_129 Depth=3
	s_wait_xcnt 0x0
	s_or_b32 exec_lo, exec_lo, s9
	v_lshl_add_u64 v[4:5], v[54:55], 4, v[40:41]
	v_cmp_eq_u32_e32 vcc_lo, 0, v21
	v_mov_b32_e32 v21, 1
	global_load_b128 v[16:19], v[4:5], off th:TH_LOAD_NT
	s_wait_xcnt 0x0
	s_and_saveexec_b32 s20, vcc_lo
	s_cbranch_execz .LBB4_145
; %bb.134:                              ;   in Loop: Header=BB4_129 Depth=3
	s_wait_loadcnt 0x0
	v_cmp_ne_u32_e32 vcc_lo, v60, v17
	v_cmp_ne_u32_e64 s9, v60, v19
	v_mov_b32_e32 v21, 0
	s_or_b32 s9, vcc_lo, s9
	s_delay_alu instid0(SALU_CYCLE_1)
	s_and_saveexec_b32 s21, s9
	s_cbranch_execz .LBB4_144
; %bb.135:                              ;   in Loop: Header=BB4_129 Depth=3
	s_mov_b32 s25, 1
	s_mov_b32 s23, 0
                                        ; implicit-def: $sgpr22
                                        ; implicit-def: $sgpr24
	s_branch .LBB4_137
.LBB4_136:                              ;   in Loop: Header=BB4_137 Depth=4
	s_or_b32 exec_lo, exec_lo, s27
	s_delay_alu instid0(SALU_CYCLE_1) | instskip(NEXT) | instid1(SALU_CYCLE_1)
	s_and_b32 s9, exec_lo, s9
	s_or_b32 s23, s9, s23
	s_and_not1_b32 s9, s22, exec_lo
	s_and_b32 s22, s24, exec_lo
	s_delay_alu instid0(SALU_CYCLE_1)
	s_or_b32 s22, s9, s22
	s_and_not1_b32 exec_lo, exec_lo, s23
	s_cbranch_execz .LBB4_141
.LBB4_137:                              ;   Parent Loop BB4_36 Depth=1
                                        ;     Parent Loop BB4_85 Depth=2
                                        ;       Parent Loop BB4_129 Depth=3
                                        ; =>      This Inner Loop Header: Depth=4
	s_wait_loadcnt 0x0
	global_load_b128 v[16:19], v[4:5], off th:TH_LOAD_NT
	s_add_co_i32 s25, s25, 1
	s_mov_b32 s9, -1
	s_cmp_lg_u32 s25, 0x2710
	s_mov_b32 s26, -1
                                        ; implicit-def: $vgpr44
	s_cbranch_scc0 .LBB4_139
; %bb.138:                              ;   in Loop: Header=BB4_137 Depth=4
	s_or_b32 s24, s24, exec_lo
	s_wait_xcnt 0x0
	s_and_saveexec_b32 s27, s26
	s_cbranch_execz .LBB4_136
	s_branch .LBB4_140
.LBB4_139:                              ;   in Loop: Header=BB4_137 Depth=4
	s_trap 2
	ds_load_b64 v[44:45], v0
	s_mov_b32 s25, 0
	s_wait_storecnt 0x0
	s_wait_loadcnt_dscnt 0x0
	flat_load_b32 v44, v[44:45] scope:SCOPE_SYS
	s_wait_loadcnt_dscnt 0x0
	global_inv scope:SCOPE_SYS
	v_cmp_eq_u32_e32 vcc_lo, 0, v44
	s_or_not1_b32 s26, vcc_lo, exec_lo
	s_or_b32 s24, s24, exec_lo
	s_wait_xcnt 0x0
	s_and_saveexec_b32 s27, s26
	s_cbranch_execz .LBB4_136
.LBB4_140:                              ;   in Loop: Header=BB4_137 Depth=4
	s_wait_loadcnt 0x0
	v_cmp_eq_u32_e32 vcc_lo, v60, v17
	v_cmp_eq_u32_e64 s9, v60, v19
	s_and_not1_b32 s24, s24, exec_lo
	s_and_b32 s9, vcc_lo, s9
	s_delay_alu instid0(SALU_CYCLE_1)
	s_or_not1_b32 s9, s9, exec_lo
	s_branch .LBB4_136
.LBB4_141:                              ;   in Loop: Header=BB4_129 Depth=3
	s_or_b32 exec_lo, exec_lo, s23
	v_mov_b32_e32 v21, 0
	s_and_saveexec_b32 s9, s22
	s_delay_alu instid0(SALU_CYCLE_1)
	s_xor_b32 s9, exec_lo, s9
	s_cbranch_execz .LBB4_143
; %bb.142:                              ;   in Loop: Header=BB4_129 Depth=3
	v_mov_b32_e32 v21, 1
	s_wait_loadcnt 0x0
	s_wait_storecnt 0x0
	ds_store_b32 v0, v44
	s_trap 2
.LBB4_143:                              ;   in Loop: Header=BB4_129 Depth=3
	s_or_b32 exec_lo, exec_lo, s9
.LBB4_144:                              ;   in Loop: Header=BB4_129 Depth=3
	s_delay_alu instid0(SALU_CYCLE_1)
	s_or_b32 exec_lo, exec_lo, s21
.LBB4_145:                              ;   in Loop: Header=BB4_129 Depth=3
	s_delay_alu instid0(SALU_CYCLE_1) | instskip(SKIP_3) | instid1(VALU_DEP_2)
	s_or_b32 exec_lo, exec_lo, s20
	s_wait_loadcnt 0x0
	v_dual_lshlrev_b32 v19, 3, v118 :: v_dual_mov_b32 v5, v55
	v_and_b32_e32 v45, 0xff, v16
                                        ; implicit-def: $vgpr44
	v_alignbit_b32 v4, v72, v2, v19
	s_delay_alu instid0(VALU_DEP_2) | instskip(SKIP_1) | instid1(SALU_CYCLE_1)
	v_cmp_ne_u16_e32 vcc_lo, 0, v45
	s_and_saveexec_b32 s9, s6
	s_xor_b32 s20, exec_lo, s9
	s_cbranch_execz .LBB4_159
; %bb.146:                              ;   in Loop: Header=BB4_129 Depth=3
	v_dual_mov_b32 v44, 0 :: v_dual_mov_b32 v2, 0
	s_and_saveexec_b32 s21, vcc_lo
	s_cbranch_execz .LBB4_152
; %bb.147:                              ;   in Loop: Header=BB4_129 Depth=3
	v_bfrev_b32_e32 v2, 1
	s_mov_b32 s22, exec_lo
	v_cmpx_ne_u16_e32 0x80, v45
	s_cbranch_execz .LBB4_151
; %bb.148:                              ;   in Loop: Header=BB4_129 Depth=3
	v_and_b32_e32 v45, 0x7f, v16
	v_mov_b32_e32 v2, 0x7f800001
	s_mov_b32 s23, exec_lo
	s_delay_alu instid0(VALU_DEP_2)
	v_cmpx_ne_u32_e32 0x7f, v45
	s_cbranch_execz .LBB4_150
; %bb.149:                              ;   in Loop: Header=BB4_129 Depth=3
	v_dual_lshrrev_b32 v46, 3, v45 :: v_dual_bitop2_b32 v2, 7, v16 bitop3:0x40
	v_cmp_gt_u32_e64 s9, 8, v45
	s_delay_alu instid0(VALU_DEP_2) | instskip(NEXT) | instid1(VALU_DEP_1)
	v_clz_i32_u32_e32 v2, v2
	v_min_u32_e32 v2, 32, v2
	s_delay_alu instid0(VALU_DEP_1) | instskip(NEXT) | instid1(VALU_DEP_1)
	v_subrev_nc_u32_e32 v45, 28, v2
	v_dual_sub_nc_u32 v2, 29, v2 :: v_dual_cndmask_b32 v45, 0, v45, s9
	s_delay_alu instid0(VALU_DEP_1) | instskip(NEXT) | instid1(VALU_DEP_2)
	v_cndmask_b32_e64 v2, v46, v2, s9
	v_lshlrev_b64_e32 v[46:47], v45, v[16:17]
	s_delay_alu instid0(VALU_DEP_1) | instskip(NEXT) | instid1(VALU_DEP_3)
	v_dual_lshlrev_b32 v45, 20, v46 :: v_dual_lshlrev_b32 v46, 24, v16
	v_lshl_add_u32 v2, v2, 23, 0x3c000000
	s_delay_alu instid0(VALU_DEP_2) | instskip(NEXT) | instid1(VALU_DEP_3)
	v_and_b32_e32 v45, 0x700000, v45
	v_and_b32_e32 v46, 0x80000000, v46
	s_delay_alu instid0(VALU_DEP_1)
	v_or3_b32 v2, v45, v46, v2
.LBB4_150:                              ;   in Loop: Header=BB4_129 Depth=3
	s_or_b32 exec_lo, exec_lo, s23
.LBB4_151:                              ;   in Loop: Header=BB4_129 Depth=3
	s_delay_alu instid0(SALU_CYCLE_1)
	s_or_b32 exec_lo, exec_lo, s22
.LBB4_152:                              ;   in Loop: Header=BB4_129 Depth=3
	s_delay_alu instid0(SALU_CYCLE_1) | instskip(SKIP_2) | instid1(VALU_DEP_1)
	s_or_b32 exec_lo, exec_lo, s21
	v_and_b32_e32 v45, 0xff, v4
	s_mov_b32 s21, exec_lo
	v_cmpx_ne_u16_e32 0, v45
	s_cbranch_execz .LBB4_158
; %bb.153:                              ;   in Loop: Header=BB4_129 Depth=3
	v_bfrev_b32_e32 v44, 1
	s_mov_b32 s22, exec_lo
	v_cmpx_ne_u16_e32 0x80, v45
	s_cbranch_execz .LBB4_157
; %bb.154:                              ;   in Loop: Header=BB4_129 Depth=3
	v_and_b32_e32 v45, 0x7f, v4
	v_mov_b32_e32 v44, 0x7f800001
	s_mov_b32 s23, exec_lo
	s_delay_alu instid0(VALU_DEP_2)
	v_cmpx_ne_u32_e32 0x7f, v45
	s_cbranch_execz .LBB4_156
; %bb.155:                              ;   in Loop: Header=BB4_129 Depth=3
	v_dual_lshrrev_b32 v46, 3, v45 :: v_dual_bitop2_b32 v44, 7, v4 bitop3:0x40
	v_cmp_gt_u32_e64 s9, 8, v45
	s_delay_alu instid0(VALU_DEP_2) | instskip(NEXT) | instid1(VALU_DEP_1)
	v_clz_i32_u32_e32 v44, v44
	v_min_u32_e32 v44, 32, v44
	s_delay_alu instid0(VALU_DEP_1) | instskip(SKIP_1) | instid1(VALU_DEP_1)
	v_subrev_nc_u32_e32 v45, 28, v44
	v_sub_nc_u32_e32 v44, 29, v44
	v_dual_cndmask_b32 v46, v46, v44, s9 :: v_dual_cndmask_b32 v44, 0, v45, s9
	s_delay_alu instid0(VALU_DEP_1) | instskip(NEXT) | instid1(VALU_DEP_2)
	v_lshl_add_u32 v46, v46, 23, 0x3c000000
	v_lshlrev_b64_e32 v[44:45], v44, v[4:5]
	v_lshlrev_b32_e32 v45, 24, v4
	s_delay_alu instid0(VALU_DEP_1) | instskip(NEXT) | instid1(VALU_DEP_3)
	v_and_b32_e32 v45, 0x80000000, v45
	v_lshlrev_b32_e32 v44, 20, v44
	s_delay_alu instid0(VALU_DEP_1) | instskip(NEXT) | instid1(VALU_DEP_1)
	v_and_b32_e32 v44, 0x700000, v44
	v_or3_b32 v44, v44, v45, v46
.LBB4_156:                              ;   in Loop: Header=BB4_129 Depth=3
	s_or_b32 exec_lo, exec_lo, s23
.LBB4_157:                              ;   in Loop: Header=BB4_129 Depth=3
	s_delay_alu instid0(SALU_CYCLE_1)
	s_or_b32 exec_lo, exec_lo, s22
.LBB4_158:                              ;   in Loop: Header=BB4_129 Depth=3
	s_delay_alu instid0(SALU_CYCLE_1) | instskip(NEXT) | instid1(VALU_DEP_1)
	s_or_b32 exec_lo, exec_lo, s21
	v_dual_max_num_f32 v44, v44, v44 :: v_dual_max_num_f32 v2, v2, v2
                                        ; implicit-def: $vgpr45
	s_delay_alu instid0(VALU_DEP_1)
	v_max_num_f32_e32 v44, v2, v44
.LBB4_159:                              ;   in Loop: Header=BB4_129 Depth=3
	s_and_not1_saveexec_b32 s9, s20
	s_cbranch_execz .LBB4_173
; %bb.160:                              ;   in Loop: Header=BB4_129 Depth=3
	v_dual_mov_b32 v2, 0 :: v_dual_mov_b32 v44, 0
	s_and_saveexec_b32 s20, vcc_lo
	s_cbranch_execz .LBB4_166
; %bb.161:                              ;   in Loop: Header=BB4_129 Depth=3
	v_bfrev_b32_e32 v44, 1
	s_mov_b32 s21, exec_lo
	v_cmpx_ne_u16_e32 0x80, v45
	s_cbranch_execz .LBB4_165
; %bb.162:                              ;   in Loop: Header=BB4_129 Depth=3
	v_and_b32_e32 v45, 0x7f, v16
	v_mov_b32_e32 v44, 0x7f800001
	s_mov_b32 s22, exec_lo
	s_delay_alu instid0(VALU_DEP_2)
	v_cmpx_ne_u32_e32 0x7f, v45
	s_cbranch_execz .LBB4_164
; %bb.163:                              ;   in Loop: Header=BB4_129 Depth=3
	v_dual_lshrrev_b32 v46, 3, v45 :: v_dual_bitop2_b32 v44, 7, v16 bitop3:0x40
	v_cmp_gt_u32_e32 vcc_lo, 8, v45
	s_delay_alu instid0(VALU_DEP_2) | instskip(NEXT) | instid1(VALU_DEP_1)
	v_clz_i32_u32_e32 v44, v44
	v_min_u32_e32 v44, 32, v44
	s_delay_alu instid0(VALU_DEP_1) | instskip(SKIP_1) | instid1(VALU_DEP_1)
	v_subrev_nc_u32_e32 v45, 28, v44
	v_sub_nc_u32_e32 v44, 29, v44
	v_dual_cndmask_b32 v46, v46, v44, vcc_lo :: v_dual_cndmask_b32 v44, 0, v45, vcc_lo
	s_delay_alu instid0(VALU_DEP_1) | instskip(NEXT) | instid1(VALU_DEP_2)
	v_lshlrev_b64_e32 v[44:45], v44, v[16:17]
	v_lshl_add_u32 v45, v46, 23, 0x3c000000
	s_delay_alu instid0(VALU_DEP_2) | instskip(SKIP_1) | instid1(VALU_DEP_2)
	v_lshlrev_b32_e32 v17, 20, v44
	v_lshlrev_b32_e32 v44, 24, v16
	v_and_b32_e32 v17, 0x700000, v17
	s_delay_alu instid0(VALU_DEP_2) | instskip(NEXT) | instid1(VALU_DEP_1)
	v_and_b32_e32 v44, 0x80000000, v44
	v_or3_b32 v44, v17, v44, v45
.LBB4_164:                              ;   in Loop: Header=BB4_129 Depth=3
	s_or_b32 exec_lo, exec_lo, s22
.LBB4_165:                              ;   in Loop: Header=BB4_129 Depth=3
	s_delay_alu instid0(SALU_CYCLE_1)
	s_or_b32 exec_lo, exec_lo, s21
.LBB4_166:                              ;   in Loop: Header=BB4_129 Depth=3
	s_delay_alu instid0(SALU_CYCLE_1) | instskip(SKIP_2) | instid1(VALU_DEP_1)
	s_or_b32 exec_lo, exec_lo, s20
	v_and_b32_e32 v17, 0xff, v4
	s_mov_b32 s20, exec_lo
	v_cmpx_ne_u16_e32 0, v17
	s_cbranch_execz .LBB4_172
; %bb.167:                              ;   in Loop: Header=BB4_129 Depth=3
	v_bfrev_b32_e32 v2, 1
	s_mov_b32 s21, exec_lo
	v_cmpx_ne_u16_e32 0x80, v17
	s_cbranch_execz .LBB4_171
; %bb.168:                              ;   in Loop: Header=BB4_129 Depth=3
	v_and_b32_e32 v17, 0x7f, v4
	v_mov_b32_e32 v2, 0x7f800001
	s_mov_b32 s22, exec_lo
	s_delay_alu instid0(VALU_DEP_2)
	v_cmpx_ne_u32_e32 0x7f, v17
	s_cbranch_execz .LBB4_170
; %bb.169:                              ;   in Loop: Header=BB4_129 Depth=3
	v_dual_lshrrev_b32 v45, 3, v17 :: v_dual_bitop2_b32 v2, 7, v4 bitop3:0x40
	v_cmp_gt_u32_e32 vcc_lo, 8, v17
	s_delay_alu instid0(VALU_DEP_2) | instskip(NEXT) | instid1(VALU_DEP_1)
	v_clz_i32_u32_e32 v2, v2
	v_min_u32_e32 v2, 32, v2
	s_delay_alu instid0(VALU_DEP_1) | instskip(SKIP_1) | instid1(VALU_DEP_2)
	v_subrev_nc_u32_e32 v46, 28, v2
	v_sub_nc_u32_e32 v2, 29, v2
	v_cndmask_b32_e32 v17, 0, v46, vcc_lo
	s_delay_alu instid0(VALU_DEP_1) | instskip(NEXT) | instid1(VALU_DEP_3)
	v_lshlrev_b64_e32 v[46:47], v17, v[4:5]
	v_dual_cndmask_b32 v2, v45, v2 :: v_dual_lshlrev_b32 v5, 24, v4
	s_delay_alu instid0(VALU_DEP_1) | instskip(NEXT) | instid1(VALU_DEP_3)
	v_and_b32_e32 v5, 0x80000000, v5
	v_lshlrev_b32_e32 v17, 20, v46
	s_delay_alu instid0(VALU_DEP_3) | instskip(NEXT) | instid1(VALU_DEP_2)
	v_lshl_add_u32 v2, v2, 23, 0x3c000000
	v_and_b32_e32 v17, 0x700000, v17
	s_delay_alu instid0(VALU_DEP_1)
	v_or3_b32 v2, v17, v5, v2
.LBB4_170:                              ;   in Loop: Header=BB4_129 Depth=3
	s_or_b32 exec_lo, exec_lo, s22
.LBB4_171:                              ;   in Loop: Header=BB4_129 Depth=3
	s_delay_alu instid0(SALU_CYCLE_1)
	s_or_b32 exec_lo, exec_lo, s21
.LBB4_172:                              ;   in Loop: Header=BB4_129 Depth=3
	s_delay_alu instid0(SALU_CYCLE_1) | instskip(NEXT) | instid1(VALU_DEP_1)
	s_or_b32 exec_lo, exec_lo, s20
	v_dual_max_num_f32 v2, v2, v2 :: v_dual_max_num_f32 v5, v44, v44
	s_delay_alu instid0(VALU_DEP_1)
	v_min_num_f32_e32 v44, v5, v2
.LBB4_173:                              ;   in Loop: Header=BB4_129 Depth=3
	s_or_b32 exec_lo, exec_lo, s9
	s_delay_alu instid0(VALU_DEP_1) | instskip(SKIP_2) | instid1(VALU_DEP_1)
	v_and_b32_e32 v46, 0x7f800000, v44
	v_dual_mov_b32 v47, v55 :: v_dual_lshrrev_b32 v5, 24, v44
                                        ; implicit-def: $vgpr2
	s_mov_b32 s9, exec_lo
	v_cmpx_ne_u64_e32 0x7f800000, v[46:47]
	s_xor_b32 s20, exec_lo, s9
	s_cbranch_execz .LBB4_187
; %bb.174:                              ;   in Loop: Header=BB4_129 Depth=3
	v_and_b32_e32 v46, 0x7fffffff, v44
	v_mov_b32_e32 v47, v55
	v_and_b32_e32 v5, 0x80, v5
                                        ; implicit-def: $vgpr2
	s_mov_b32 s9, exec_lo
	s_delay_alu instid0(VALU_DEP_2)
	v_cmpx_gt_u64_e32 0x43e00001, v[46:47]
	s_xor_b32 s21, exec_lo, s9
	s_cbranch_execz .LBB4_184
; %bb.175:                              ;   in Loop: Header=BB4_129 Depth=3
	v_mov_b32_e32 v2, 0
	s_mov_b32 s22, exec_lo
	v_cmpx_ne_u32_e32 0, v44
	s_cbranch_execz .LBB4_183
; %bb.176:                              ;   in Loop: Header=BB4_129 Depth=3
	v_bfe_u32 v2, v44, 23, 8
	v_and_b32_e32 v46, 0x7fffff, v44
	s_mov_b32 s23, exec_lo
	s_delay_alu instid0(VALU_DEP_2) | instskip(SKIP_3) | instid1(VALU_DEP_1)
	v_sub_nc_u32_e32 v17, 0x79, v2
	v_cmp_gt_u32_e64 s9, 0x7a, v2
	v_cmp_eq_u32_e32 vcc_lo, 0, v2
	v_or_b32_e32 v47, 0x800000, v46
	v_dual_cndmask_b32 v17, 0, v17, s9 :: v_dual_cndmask_b32 v46, v47, v46, vcc_lo
	v_mov_b32_e32 v47, v55
	s_delay_alu instid0(VALU_DEP_2) | instskip(NEXT) | instid1(VALU_DEP_1)
	v_cndmask_b32_e64 v17, v17, 0x78, vcc_lo
	v_dual_add_nc_u32 v44, 20, v17 :: v_dual_add_nc_u32 v62, 19, v17
	s_delay_alu instid0(VALU_DEP_1) | instskip(NEXT) | instid1(VALU_DEP_2)
	v_lshlrev_b64_e64 v[44:45], v44, -1
	v_lshlrev_b64_e64 v[74:75], v62, 1
	s_delay_alu instid0(VALU_DEP_2) | instskip(NEXT) | instid1(VALU_DEP_3)
	v_bfi_b32 v77, v45, 0, 0
	v_bfi_b32 v76, v44, 0, v46
	v_lshrrev_b64 v[44:45], v17, v[46:47]
	s_delay_alu instid0(VALU_DEP_1) | instskip(NEXT) | instid1(VALU_DEP_3)
	v_mov_b64_e32 v[46:47], v[44:45]
	v_cmpx_eq_u64_e64 v[76:77], v[74:75]
; %bb.177:                              ;   in Loop: Header=BB4_129 Depth=3
	v_bfe_u32 v46, v44, 20, 1
	v_mov_b32_e32 v47, v55
	s_delay_alu instid0(VALU_DEP_1) | instskip(NEXT) | instid1(VALU_DEP_1)
	v_add_nc_u64_e32 v[46:47], v[44:45], v[46:47]
	v_add_nc_u64_e32 v[46:47], -1, v[46:47]
; %bb.178:                              ;   in Loop: Header=BB4_129 Depth=3
	s_or_b32 exec_lo, exec_lo, s23
	v_add_nc_u32_e32 v2, 0xffffff81, v2
	v_lshrrev_b32_e32 v45, 23, v44
	s_mov_b32 s9, exec_lo
	s_delay_alu instid0(VALU_DEP_2) | instskip(NEXT) | instid1(VALU_DEP_1)
	v_cndmask_b32_e64 v2, v2, 0xffffff82, vcc_lo
	v_add3_u32 v17, v17, v2, v45
	v_and_b32_e32 v2, 0xfffff, v46
	s_delay_alu instid0(VALU_DEP_2) | instskip(NEXT) | instid1(VALU_DEP_2)
	v_dual_mov_b32 v45, v55 :: v_dual_add_nc_u32 v46, 6, v17
	v_add_nc_u32_e32 v44, v2, v44
                                        ; implicit-def: $vgpr2
	s_delay_alu instid0(VALU_DEP_2)
	v_cmpx_ne_u32_e32 0, v46
	s_xor_b32 s9, exec_lo, s9
; %bb.179:                              ;   in Loop: Header=BB4_129 Depth=3
	s_delay_alu instid0(VALU_DEP_2) | instskip(SKIP_2) | instid1(VALU_DEP_2)
	v_cmp_lt_u64_e32 vcc_lo, 0xffffff, v[44:45]
	v_add_nc_u32_e32 v2, 7, v17
	v_cndmask_b32_e64 v17, 0, 1, vcc_lo
	v_cndmask_b32_e32 v2, v46, v2, vcc_lo
	s_delay_alu instid0(VALU_DEP_2)
	v_lshrrev_b64 v[44:45], v17, v[44:45]
; %bb.180:                              ;   in Loop: Header=BB4_129 Depth=3
	s_and_not1_saveexec_b32 s9, s9
; %bb.181:                              ;   in Loop: Header=BB4_129 Depth=3
	s_delay_alu instid0(VALU_DEP_1)
	v_bfe_u32 v2, v44, 23, 1
; %bb.182:                              ;   in Loop: Header=BB4_129 Depth=3
	s_or_b32 exec_lo, exec_lo, s9
	s_delay_alu instid0(VALU_DEP_2) | instskip(NEXT) | instid1(VALU_DEP_2)
	v_lshrrev_b64 v[44:45], 20, v[44:45]
	v_cmp_gt_i32_e32 vcc_lo, 16, v2
	v_min_i32_e32 v17, 15, v2
	v_cmp_eq_u32_e64 s9, 0, v2
	s_delay_alu instid0(VALU_DEP_4) | instskip(NEXT) | instid1(VALU_DEP_3)
	v_cndmask_b32_e32 v45, 0, v45, vcc_lo
	v_dual_cndmask_b32 v44, 7, v44 :: v_dual_lshlrev_b32 v17, 3, v17
	s_delay_alu instid0(VALU_DEP_1) | instskip(NEXT) | instid1(VALU_DEP_2)
	v_and_b32_e32 v17, 0xf8, v17
	v_cmp_eq_u64_e32 vcc_lo, 0, v[44:45]
	s_delay_alu instid0(VALU_DEP_2)
	v_and_or_b32 v2, v44, 7, v17
	s_and_b32 s9, s9, vcc_lo
	s_delay_alu instid0(VALU_DEP_1) | instid1(SALU_CYCLE_1)
	v_cndmask_b32_e64 v2, v2, 0, s9
	s_delay_alu instid0(VALU_DEP_1)
	v_or_b32_e32 v2, v2, v5
.LBB4_183:                              ;   in Loop: Header=BB4_129 Depth=3
	s_or_b32 exec_lo, exec_lo, s22
                                        ; implicit-def: $vgpr5
.LBB4_184:                              ;   in Loop: Header=BB4_129 Depth=3
	s_and_not1_saveexec_b32 s9, s21
; %bb.185:                              ;   in Loop: Header=BB4_129 Depth=3
	v_or_b32_e32 v2, 0x7e, v5
; %bb.186:                              ;   in Loop: Header=BB4_129 Depth=3
	s_or_b32 exec_lo, exec_lo, s9
                                        ; implicit-def: $vgpr5
.LBB4_187:                              ;   in Loop: Header=BB4_129 Depth=3
	s_and_not1_saveexec_b32 s9, s20
; %bb.188:                              ;   in Loop: Header=BB4_129 Depth=3
	v_or_b32_e32 v2, 0x7f, v5
; %bb.189:                              ;   in Loop: Header=BB4_129 Depth=3
	s_or_b32 exec_lo, exec_lo, s9
	v_lshrrev_b16 v44, 8, v16
	v_lshrrev_b16 v5, 8, v4
                                        ; implicit-def: $vgpr17
	s_delay_alu instid0(VALU_DEP_2) | instskip(SKIP_1) | instid1(SALU_CYCLE_1)
	v_cmp_ne_u16_e32 vcc_lo, 0, v44
	s_and_saveexec_b32 s9, s6
	s_xor_b32 s20, exec_lo, s9
	s_cbranch_execz .LBB4_207
; %bb.190:                              ;   in Loop: Header=BB4_129 Depth=3
	v_dual_mov_b32 v46, 0 :: v_dual_mov_b32 v17, 0
	s_and_saveexec_b32 s21, vcc_lo
	s_cbranch_execz .LBB4_198
; %bb.191:                              ;   in Loop: Header=BB4_129 Depth=3
	v_bfrev_b32_e32 v17, 1
	s_mov_b32 s22, exec_lo
	v_cmpx_ne_u16_e32 0x80, v44
	s_cbranch_execz .LBB4_197
; %bb.192:                              ;   in Loop: Header=BB4_129 Depth=3
	v_and_b32_e32 v44, 0xffff, v44
	v_mov_b32_e32 v17, 0x7f800001
	s_mov_b32 s23, exec_lo
	s_delay_alu instid0(VALU_DEP_2) | instskip(NEXT) | instid1(VALU_DEP_1)
	v_and_b32_e32 v47, 0x7f, v44
	v_cmpx_ne_u32_e32 0x7f, v47
	s_cbranch_execz .LBB4_196
; %bb.193:                              ;   in Loop: Header=BB4_129 Depth=3
	v_dual_mov_b32 v45, v55 :: v_dual_bitop2_b32 v44, 7, v44 bitop3:0x40
	v_lshrrev_b32_e32 v17, 3, v47
	s_mov_b32 s24, exec_lo
	v_cmpx_gt_u32_e32 8, v47
; %bb.194:                              ;   in Loop: Header=BB4_129 Depth=3
	s_delay_alu instid0(VALU_DEP_3) | instskip(NEXT) | instid1(VALU_DEP_1)
	v_clz_i32_u32_e32 v17, v44
	v_min_u32_e32 v17, 32, v17
	s_delay_alu instid0(VALU_DEP_1) | instskip(NEXT) | instid1(VALU_DEP_1)
	v_subrev_nc_u32_e32 v47, 28, v17
	v_lshlrev_b64_e32 v[44:45], v47, v[44:45]
	s_delay_alu instid0(VALU_DEP_1)
	v_dual_sub_nc_u32 v17, 29, v17 :: v_dual_bitop2_b32 v44, 7, v44 bitop3:0x40
; %bb.195:                              ;   in Loop: Header=BB4_129 Depth=3
	s_or_b32 exec_lo, exec_lo, s24
	v_lshlrev_b32_e32 v45, 16, v16
	s_delay_alu instid0(VALU_DEP_2) | instskip(NEXT) | instid1(VALU_DEP_3)
	v_lshlrev_b32_e32 v44, 20, v44
	v_lshl_add_u32 v17, v17, 23, 0x3c000000
	s_delay_alu instid0(VALU_DEP_3) | instskip(NEXT) | instid1(VALU_DEP_1)
	v_and_b32_e32 v45, 0x80000000, v45
	v_or3_b32 v17, v44, v45, v17
.LBB4_196:                              ;   in Loop: Header=BB4_129 Depth=3
	s_or_b32 exec_lo, exec_lo, s23
.LBB4_197:                              ;   in Loop: Header=BB4_129 Depth=3
	s_delay_alu instid0(SALU_CYCLE_1)
	s_or_b32 exec_lo, exec_lo, s22
.LBB4_198:                              ;   in Loop: Header=BB4_129 Depth=3
	s_delay_alu instid0(SALU_CYCLE_1) | instskip(NEXT) | instid1(SALU_CYCLE_1)
	s_or_b32 exec_lo, exec_lo, s21
	s_mov_b32 s21, exec_lo
	v_cmpx_ne_u16_e32 0, v5
	s_cbranch_execz .LBB4_206
; %bb.199:                              ;   in Loop: Header=BB4_129 Depth=3
	v_bfrev_b32_e32 v46, 1
	s_mov_b32 s22, exec_lo
	v_cmpx_ne_u16_e32 0x80, v5
	s_cbranch_execz .LBB4_205
; %bb.200:                              ;   in Loop: Header=BB4_129 Depth=3
	v_and_b32_e32 v5, 0xffff, v5
	v_mov_b32_e32 v46, 0x7f800001
	s_mov_b32 s23, exec_lo
	s_delay_alu instid0(VALU_DEP_2) | instskip(NEXT) | instid1(VALU_DEP_1)
	v_and_b32_e32 v47, 0x7f, v5
	v_cmpx_ne_u32_e32 0x7f, v47
	s_cbranch_execz .LBB4_204
; %bb.201:                              ;   in Loop: Header=BB4_129 Depth=3
	v_dual_mov_b32 v45, v55 :: v_dual_bitop2_b32 v44, 7, v5 bitop3:0x40
	v_lshrrev_b32_e32 v5, 3, v47
	s_mov_b32 s24, exec_lo
	v_cmpx_gt_u32_e32 8, v47
; %bb.202:                              ;   in Loop: Header=BB4_129 Depth=3
	s_delay_alu instid0(VALU_DEP_3) | instskip(NEXT) | instid1(VALU_DEP_1)
	v_clz_i32_u32_e32 v5, v44
	v_min_u32_e32 v5, 32, v5
	s_delay_alu instid0(VALU_DEP_1) | instskip(NEXT) | instid1(VALU_DEP_1)
	v_subrev_nc_u32_e32 v46, 28, v5
	v_lshlrev_b64_e32 v[44:45], v46, v[44:45]
	s_delay_alu instid0(VALU_DEP_1)
	v_dual_sub_nc_u32 v5, 29, v5 :: v_dual_bitop2_b32 v44, 7, v44 bitop3:0x40
; %bb.203:                              ;   in Loop: Header=BB4_129 Depth=3
	s_or_b32 exec_lo, exec_lo, s24
	v_lshlrev_b32_e32 v45, 16, v4
	s_delay_alu instid0(VALU_DEP_2) | instskip(NEXT) | instid1(VALU_DEP_3)
	v_lshlrev_b32_e32 v44, 20, v44
	v_lshl_add_u32 v5, v5, 23, 0x3c000000
	s_delay_alu instid0(VALU_DEP_3) | instskip(NEXT) | instid1(VALU_DEP_1)
	v_and_b32_e32 v45, 0x80000000, v45
	v_or3_b32 v46, v44, v45, v5
.LBB4_204:                              ;   in Loop: Header=BB4_129 Depth=3
	s_or_b32 exec_lo, exec_lo, s23
.LBB4_205:                              ;   in Loop: Header=BB4_129 Depth=3
	s_delay_alu instid0(SALU_CYCLE_1)
	s_or_b32 exec_lo, exec_lo, s22
.LBB4_206:                              ;   in Loop: Header=BB4_129 Depth=3
	s_delay_alu instid0(SALU_CYCLE_1) | instskip(NEXT) | instid1(VALU_DEP_1)
	s_or_b32 exec_lo, exec_lo, s21
	v_dual_max_num_f32 v5, v46, v46 :: v_dual_max_num_f32 v17, v17, v17
                                        ; implicit-def: $vgpr44
	s_delay_alu instid0(VALU_DEP_1)
	v_max_num_f32_e32 v17, v17, v5
                                        ; implicit-def: $vgpr5
.LBB4_207:                              ;   in Loop: Header=BB4_129 Depth=3
	s_and_not1_saveexec_b32 s9, s20
	s_cbranch_execz .LBB4_225
; %bb.208:                              ;   in Loop: Header=BB4_129 Depth=3
	v_dual_mov_b32 v46, 0 :: v_dual_mov_b32 v17, 0
	s_and_saveexec_b32 s20, vcc_lo
	s_cbranch_execz .LBB4_216
; %bb.209:                              ;   in Loop: Header=BB4_129 Depth=3
	v_bfrev_b32_e32 v17, 1
	s_mov_b32 s21, exec_lo
	v_cmpx_ne_u16_e32 0x80, v44
	s_cbranch_execz .LBB4_215
; %bb.210:                              ;   in Loop: Header=BB4_129 Depth=3
	v_and_b32_e32 v44, 0xffff, v44
	v_mov_b32_e32 v17, 0x7f800001
	s_mov_b32 s22, exec_lo
	s_delay_alu instid0(VALU_DEP_2) | instskip(NEXT) | instid1(VALU_DEP_1)
	v_and_b32_e32 v47, 0x7f, v44
	v_cmpx_ne_u32_e32 0x7f, v47
	s_cbranch_execz .LBB4_214
; %bb.211:                              ;   in Loop: Header=BB4_129 Depth=3
	v_dual_mov_b32 v45, v55 :: v_dual_bitop2_b32 v44, 7, v44 bitop3:0x40
	v_lshrrev_b32_e32 v17, 3, v47
	s_mov_b32 s23, exec_lo
	v_cmpx_gt_u32_e32 8, v47
; %bb.212:                              ;   in Loop: Header=BB4_129 Depth=3
	s_delay_alu instid0(VALU_DEP_3) | instskip(NEXT) | instid1(VALU_DEP_1)
	v_clz_i32_u32_e32 v17, v44
	v_min_u32_e32 v17, 32, v17
	s_delay_alu instid0(VALU_DEP_1) | instskip(NEXT) | instid1(VALU_DEP_1)
	v_subrev_nc_u32_e32 v47, 28, v17
	v_lshlrev_b64_e32 v[44:45], v47, v[44:45]
	s_delay_alu instid0(VALU_DEP_1)
	v_dual_sub_nc_u32 v17, 29, v17 :: v_dual_bitop2_b32 v44, 7, v44 bitop3:0x40
; %bb.213:                              ;   in Loop: Header=BB4_129 Depth=3
	s_or_b32 exec_lo, exec_lo, s23
	v_lshlrev_b32_e32 v45, 16, v16
	s_delay_alu instid0(VALU_DEP_2) | instskip(NEXT) | instid1(VALU_DEP_3)
	v_lshlrev_b32_e32 v44, 20, v44
	v_lshl_add_u32 v17, v17, 23, 0x3c000000
	s_delay_alu instid0(VALU_DEP_3) | instskip(NEXT) | instid1(VALU_DEP_1)
	v_and_b32_e32 v45, 0x80000000, v45
	v_or3_b32 v17, v44, v45, v17
.LBB4_214:                              ;   in Loop: Header=BB4_129 Depth=3
	s_or_b32 exec_lo, exec_lo, s22
.LBB4_215:                              ;   in Loop: Header=BB4_129 Depth=3
	s_delay_alu instid0(SALU_CYCLE_1)
	s_or_b32 exec_lo, exec_lo, s21
.LBB4_216:                              ;   in Loop: Header=BB4_129 Depth=3
	s_delay_alu instid0(SALU_CYCLE_1) | instskip(NEXT) | instid1(SALU_CYCLE_1)
	s_or_b32 exec_lo, exec_lo, s20
	s_mov_b32 s20, exec_lo
	v_cmpx_ne_u16_e32 0, v5
	s_cbranch_execz .LBB4_224
; %bb.217:                              ;   in Loop: Header=BB4_129 Depth=3
	v_bfrev_b32_e32 v46, 1
	s_mov_b32 s21, exec_lo
	v_cmpx_ne_u16_e32 0x80, v5
	s_cbranch_execz .LBB4_223
; %bb.218:                              ;   in Loop: Header=BB4_129 Depth=3
	v_and_b32_e32 v5, 0xffff, v5
	v_mov_b32_e32 v46, 0x7f800001
	s_mov_b32 s22, exec_lo
	s_delay_alu instid0(VALU_DEP_2) | instskip(NEXT) | instid1(VALU_DEP_1)
	v_and_b32_e32 v47, 0x7f, v5
	v_cmpx_ne_u32_e32 0x7f, v47
	s_cbranch_execz .LBB4_222
; %bb.219:                              ;   in Loop: Header=BB4_129 Depth=3
	v_dual_mov_b32 v45, v55 :: v_dual_bitop2_b32 v44, 7, v5 bitop3:0x40
	v_lshrrev_b32_e32 v5, 3, v47
	s_mov_b32 s23, exec_lo
	v_cmpx_gt_u32_e32 8, v47
; %bb.220:                              ;   in Loop: Header=BB4_129 Depth=3
	s_delay_alu instid0(VALU_DEP_3) | instskip(NEXT) | instid1(VALU_DEP_1)
	v_clz_i32_u32_e32 v5, v44
	v_min_u32_e32 v5, 32, v5
	s_delay_alu instid0(VALU_DEP_1) | instskip(NEXT) | instid1(VALU_DEP_1)
	v_subrev_nc_u32_e32 v46, 28, v5
	v_lshlrev_b64_e32 v[44:45], v46, v[44:45]
	s_delay_alu instid0(VALU_DEP_1)
	v_dual_sub_nc_u32 v5, 29, v5 :: v_dual_bitop2_b32 v44, 7, v44 bitop3:0x40
; %bb.221:                              ;   in Loop: Header=BB4_129 Depth=3
	s_or_b32 exec_lo, exec_lo, s23
	v_lshlrev_b32_e32 v45, 16, v4
	s_delay_alu instid0(VALU_DEP_2) | instskip(NEXT) | instid1(VALU_DEP_3)
	v_lshlrev_b32_e32 v44, 20, v44
	v_lshl_add_u32 v5, v5, 23, 0x3c000000
	s_delay_alu instid0(VALU_DEP_3) | instskip(NEXT) | instid1(VALU_DEP_1)
	v_and_b32_e32 v45, 0x80000000, v45
	v_or3_b32 v46, v44, v45, v5
.LBB4_222:                              ;   in Loop: Header=BB4_129 Depth=3
	s_or_b32 exec_lo, exec_lo, s22
.LBB4_223:                              ;   in Loop: Header=BB4_129 Depth=3
	s_delay_alu instid0(SALU_CYCLE_1)
	s_or_b32 exec_lo, exec_lo, s21
.LBB4_224:                              ;   in Loop: Header=BB4_129 Depth=3
	s_delay_alu instid0(SALU_CYCLE_1) | instskip(NEXT) | instid1(VALU_DEP_1)
	s_or_b32 exec_lo, exec_lo, s20
	v_dual_max_num_f32 v5, v46, v46 :: v_dual_max_num_f32 v17, v17, v17
	s_delay_alu instid0(VALU_DEP_1)
	v_min_num_f32_e32 v17, v17, v5
.LBB4_225:                              ;   in Loop: Header=BB4_129 Depth=3
	s_or_b32 exec_lo, exec_lo, s9
	s_delay_alu instid0(VALU_DEP_1) | instskip(SKIP_2) | instid1(VALU_DEP_1)
	v_and_b32_e32 v44, 0x7f800000, v17
	v_dual_mov_b32 v45, v55 :: v_dual_lshrrev_b32 v5, 24, v17
                                        ; implicit-def: $vgpr62
	s_mov_b32 s9, exec_lo
	v_cmpx_ne_u64_e32 0x7f800000, v[44:45]
	s_xor_b32 s20, exec_lo, s9
	s_cbranch_execz .LBB4_239
; %bb.226:                              ;   in Loop: Header=BB4_129 Depth=3
	v_and_b32_e32 v44, 0x7fffffff, v17
	v_mov_b32_e32 v45, v55
	v_and_b32_e32 v5, 0x80, v5
                                        ; implicit-def: $vgpr62
	s_mov_b32 s9, exec_lo
	s_delay_alu instid0(VALU_DEP_2)
	v_cmpx_gt_u64_e32 0x43e00001, v[44:45]
	s_xor_b32 s21, exec_lo, s9
	s_cbranch_execz .LBB4_236
; %bb.227:                              ;   in Loop: Header=BB4_129 Depth=3
	v_mov_b32_e32 v62, 0
	s_mov_b32 s22, exec_lo
	v_cmpx_ne_u32_e32 0, v17
	s_cbranch_execz .LBB4_235
; %bb.228:                              ;   in Loop: Header=BB4_129 Depth=3
	v_bfe_u32 v62, v17, 23, 8
	v_and_b32_e32 v17, 0x7fffff, v17
	s_mov_b32 s23, exec_lo
	s_delay_alu instid0(VALU_DEP_2) | instskip(SKIP_1) | instid1(VALU_DEP_3)
	v_dual_mov_b32 v47, v55 :: v_dual_sub_nc_u32 v44, 0x79, v62
	v_cmp_gt_u32_e32 vcc_lo, 0x7a, v62
	v_or_b32_e32 v46, 0x800000, v17
	s_delay_alu instid0(VALU_DEP_3) | instskip(SKIP_1) | instid1(VALU_DEP_2)
	v_cndmask_b32_e32 v44, 0, v44, vcc_lo
	v_cmp_eq_u32_e32 vcc_lo, 0, v62
	v_cndmask_b32_e64 v73, v44, 0x78, vcc_lo
	s_delay_alu instid0(VALU_DEP_4) | instskip(NEXT) | instid1(VALU_DEP_2)
	v_cndmask_b32_e32 v46, v46, v17, vcc_lo
	v_dual_add_nc_u32 v44, 20, v73 :: v_dual_add_nc_u32 v74, 19, v73
	s_delay_alu instid0(VALU_DEP_1) | instskip(NEXT) | instid1(VALU_DEP_2)
	v_lshlrev_b64_e64 v[44:45], v44, -1
	v_lshlrev_b64_e64 v[74:75], v74, 1
	s_delay_alu instid0(VALU_DEP_2) | instskip(NEXT) | instid1(VALU_DEP_3)
	v_bfi_b32 v77, v45, 0, 0
	v_bfi_b32 v76, v44, 0, v46
	v_lshrrev_b64 v[44:45], v73, v[46:47]
	s_delay_alu instid0(VALU_DEP_1) | instskip(NEXT) | instid1(VALU_DEP_3)
	v_mov_b64_e32 v[46:47], v[44:45]
	v_cmpx_eq_u64_e64 v[76:77], v[74:75]
; %bb.229:                              ;   in Loop: Header=BB4_129 Depth=3
	v_bfe_u32 v46, v44, 20, 1
	v_mov_b32_e32 v47, v55
	s_delay_alu instid0(VALU_DEP_1) | instskip(NEXT) | instid1(VALU_DEP_1)
	v_add_nc_u64_e32 v[46:47], v[44:45], v[46:47]
	v_add_nc_u64_e32 v[46:47], -1, v[46:47]
; %bb.230:                              ;   in Loop: Header=BB4_129 Depth=3
	s_or_b32 exec_lo, exec_lo, s23
	v_add_nc_u32_e32 v17, 0xffffff81, v62
	v_lshrrev_b32_e32 v45, 23, v44
	s_mov_b32 s9, exec_lo
	s_delay_alu instid0(VALU_DEP_2) | instskip(NEXT) | instid1(VALU_DEP_1)
	v_cndmask_b32_e64 v17, v17, 0xffffff82, vcc_lo
	v_add3_u32 v47, v73, v17, v45
	v_and_b32_e32 v17, 0xfffff, v46
	s_delay_alu instid0(VALU_DEP_2) | instskip(NEXT) | instid1(VALU_DEP_2)
	v_dual_mov_b32 v45, v55 :: v_dual_add_nc_u32 v46, 6, v47
	v_add_nc_u32_e32 v44, v17, v44
                                        ; implicit-def: $vgpr17
	s_delay_alu instid0(VALU_DEP_2)
	v_cmpx_ne_u32_e32 0, v46
	s_xor_b32 s9, exec_lo, s9
; %bb.231:                              ;   in Loop: Header=BB4_129 Depth=3
	s_delay_alu instid0(VALU_DEP_2) | instskip(SKIP_1) | instid1(VALU_DEP_1)
	v_cmp_lt_u64_e32 vcc_lo, 0xffffff, v[44:45]
	v_add_nc_u32_e32 v17, 7, v47
	v_cndmask_b32_e32 v17, v46, v17, vcc_lo
	v_cndmask_b32_e64 v46, 0, 1, vcc_lo
	s_delay_alu instid0(VALU_DEP_1)
	v_lshrrev_b64 v[44:45], v46, v[44:45]
; %bb.232:                              ;   in Loop: Header=BB4_129 Depth=3
	s_and_not1_saveexec_b32 s9, s9
; %bb.233:                              ;   in Loop: Header=BB4_129 Depth=3
	s_delay_alu instid0(VALU_DEP_1)
	v_bfe_u32 v17, v44, 23, 1
; %bb.234:                              ;   in Loop: Header=BB4_129 Depth=3
	s_or_b32 exec_lo, exec_lo, s9
	s_delay_alu instid0(VALU_DEP_2) | instskip(NEXT) | instid1(VALU_DEP_2)
	v_lshrrev_b64 v[44:45], 20, v[44:45]
	v_cmp_gt_i32_e32 vcc_lo, 16, v17
	v_min_i32_e32 v46, 15, v17
	v_cmp_eq_u32_e64 s9, 0, v17
	s_delay_alu instid0(VALU_DEP_2) | instskip(SKIP_1) | instid1(VALU_DEP_2)
	v_dual_cndmask_b32 v44, 7, v44, vcc_lo :: v_dual_lshlrev_b32 v46, 3, v46
	v_cndmask_b32_e32 v45, 0, v45, vcc_lo
	v_and_b32_e32 v46, 0xf8, v46
	s_delay_alu instid0(VALU_DEP_2) | instskip(NEXT) | instid1(VALU_DEP_2)
	v_cmp_eq_u64_e32 vcc_lo, 0, v[44:45]
	v_and_or_b32 v17, v44, 7, v46
	s_and_b32 s9, s9, vcc_lo
	s_delay_alu instid0(VALU_DEP_1) | instid1(SALU_CYCLE_1)
	v_cndmask_b32_e64 v17, v17, 0, s9
	s_delay_alu instid0(VALU_DEP_1)
	v_or_b32_e32 v62, v17, v5
.LBB4_235:                              ;   in Loop: Header=BB4_129 Depth=3
	s_or_b32 exec_lo, exec_lo, s22
                                        ; implicit-def: $vgpr5
.LBB4_236:                              ;   in Loop: Header=BB4_129 Depth=3
	s_and_not1_saveexec_b32 s9, s21
; %bb.237:                              ;   in Loop: Header=BB4_129 Depth=3
	v_or_b32_e32 v62, 0x7e, v5
; %bb.238:                              ;   in Loop: Header=BB4_129 Depth=3
	s_or_b32 exec_lo, exec_lo, s9
                                        ; implicit-def: $vgpr5
.LBB4_239:                              ;   in Loop: Header=BB4_129 Depth=3
	s_and_not1_saveexec_b32 s9, s20
; %bb.240:                              ;   in Loop: Header=BB4_129 Depth=3
	v_or_b32_e32 v62, 0x7f, v5
; %bb.241:                              ;   in Loop: Header=BB4_129 Depth=3
	s_or_b32 exec_lo, exec_lo, s9
	v_lshrrev_b32_e32 v17, 16, v16
	v_lshrrev_b32_e32 v5, 16, v4
                                        ; implicit-def: $vgpr44
	s_delay_alu instid0(VALU_DEP_2) | instskip(NEXT) | instid1(VALU_DEP_1)
	v_and_b32_e32 v45, 0xff, v17
	v_cmp_ne_u16_e32 vcc_lo, 0, v45
	s_and_saveexec_b32 s9, s6
	s_delay_alu instid0(SALU_CYCLE_1)
	s_xor_b32 s20, exec_lo, s9
	s_cbranch_execz .LBB4_259
; %bb.242:                              ;   in Loop: Header=BB4_129 Depth=3
	v_dual_mov_b32 v47, 0 :: v_dual_mov_b32 v46, 0
	s_and_saveexec_b32 s21, vcc_lo
	s_cbranch_execz .LBB4_250
; %bb.243:                              ;   in Loop: Header=BB4_129 Depth=3
	v_bfrev_b32_e32 v46, 1
	s_mov_b32 s22, exec_lo
	v_cmpx_ne_u16_e32 0x80, v45
	s_cbranch_execz .LBB4_249
; %bb.244:                              ;   in Loop: Header=BB4_129 Depth=3
	v_bfe_u32 v73, v16, 16, 7
	v_mov_b32_e32 v46, 0x7f800001
	s_mov_b32 s23, exec_lo
	s_delay_alu instid0(VALU_DEP_2)
	v_cmpx_ne_u32_e32 0x7f, v73
	s_cbranch_execz .LBB4_248
; %bb.245:                              ;   in Loop: Header=BB4_129 Depth=3
	v_dual_mov_b32 v45, v55 :: v_dual_bitop2_b32 v44, 7, v17 bitop3:0x40
	v_lshrrev_b32_e32 v46, 3, v73
	s_mov_b32 s24, exec_lo
	v_cmpx_gt_u32_e32 8, v73
; %bb.246:                              ;   in Loop: Header=BB4_129 Depth=3
	s_delay_alu instid0(VALU_DEP_3) | instskip(NEXT) | instid1(VALU_DEP_1)
	v_clz_i32_u32_e32 v46, v44
	v_min_u32_e32 v46, 32, v46
	s_delay_alu instid0(VALU_DEP_1) | instskip(NEXT) | instid1(VALU_DEP_1)
	v_subrev_nc_u32_e32 v73, 28, v46
	v_lshlrev_b64_e32 v[44:45], v73, v[44:45]
	s_delay_alu instid0(VALU_DEP_1)
	v_dual_sub_nc_u32 v46, 29, v46 :: v_dual_bitop2_b32 v44, 7, v44 bitop3:0x40
; %bb.247:                              ;   in Loop: Header=BB4_129 Depth=3
	s_or_b32 exec_lo, exec_lo, s24
	s_delay_alu instid0(VALU_DEP_1) | instskip(NEXT) | instid1(VALU_DEP_2)
	v_dual_lshlrev_b32 v17, 24, v17 :: v_dual_lshlrev_b32 v44, 20, v44
	v_lshl_add_u32 v45, v46, 23, 0x3c000000
	s_delay_alu instid0(VALU_DEP_2) | instskip(NEXT) | instid1(VALU_DEP_1)
	v_and_b32_e32 v17, 0x80000000, v17
	v_or3_b32 v46, v44, v17, v45
.LBB4_248:                              ;   in Loop: Header=BB4_129 Depth=3
	s_or_b32 exec_lo, exec_lo, s23
.LBB4_249:                              ;   in Loop: Header=BB4_129 Depth=3
	s_delay_alu instid0(SALU_CYCLE_1)
	s_or_b32 exec_lo, exec_lo, s22
.LBB4_250:                              ;   in Loop: Header=BB4_129 Depth=3
	s_delay_alu instid0(SALU_CYCLE_1) | instskip(SKIP_2) | instid1(VALU_DEP_1)
	s_or_b32 exec_lo, exec_lo, s21
	v_and_b32_e32 v17, 0xff, v5
	s_mov_b32 s21, exec_lo
	v_cmpx_ne_u16_e32 0, v17
	s_cbranch_execz .LBB4_258
; %bb.251:                              ;   in Loop: Header=BB4_129 Depth=3
	v_bfrev_b32_e32 v47, 1
	s_mov_b32 s22, exec_lo
	v_cmpx_ne_u16_e32 0x80, v17
	s_cbranch_execz .LBB4_257
; %bb.252:                              ;   in Loop: Header=BB4_129 Depth=3
	v_bfe_u32 v73, v4, 16, 7
	v_mov_b32_e32 v47, 0x7f800001
	s_mov_b32 s23, exec_lo
	s_delay_alu instid0(VALU_DEP_2)
	v_cmpx_ne_u32_e32 0x7f, v73
	s_cbranch_execz .LBB4_256
; %bb.253:                              ;   in Loop: Header=BB4_129 Depth=3
	v_dual_mov_b32 v45, v55 :: v_dual_bitop2_b32 v44, 7, v5 bitop3:0x40
	v_lshrrev_b32_e32 v17, 3, v73
	s_mov_b32 s24, exec_lo
	v_cmpx_gt_u32_e32 8, v73
; %bb.254:                              ;   in Loop: Header=BB4_129 Depth=3
	s_delay_alu instid0(VALU_DEP_3) | instskip(NEXT) | instid1(VALU_DEP_1)
	v_clz_i32_u32_e32 v17, v44
	v_min_u32_e32 v17, 32, v17
	s_delay_alu instid0(VALU_DEP_1) | instskip(NEXT) | instid1(VALU_DEP_1)
	v_subrev_nc_u32_e32 v47, 28, v17
	v_lshlrev_b64_e32 v[44:45], v47, v[44:45]
	s_delay_alu instid0(VALU_DEP_1)
	v_dual_sub_nc_u32 v17, 29, v17 :: v_dual_bitop2_b32 v44, 7, v44 bitop3:0x40
; %bb.255:                              ;   in Loop: Header=BB4_129 Depth=3
	s_or_b32 exec_lo, exec_lo, s24
	s_delay_alu instid0(VALU_DEP_1) | instskip(NEXT) | instid1(VALU_DEP_2)
	v_dual_lshlrev_b32 v5, 24, v5 :: v_dual_lshlrev_b32 v44, 20, v44
	v_lshl_add_u32 v17, v17, 23, 0x3c000000
	s_delay_alu instid0(VALU_DEP_2) | instskip(NEXT) | instid1(VALU_DEP_1)
	v_and_b32_e32 v5, 0x80000000, v5
	v_or3_b32 v47, v44, v5, v17
.LBB4_256:                              ;   in Loop: Header=BB4_129 Depth=3
	s_or_b32 exec_lo, exec_lo, s23
.LBB4_257:                              ;   in Loop: Header=BB4_129 Depth=3
	s_delay_alu instid0(SALU_CYCLE_1)
	s_or_b32 exec_lo, exec_lo, s22
.LBB4_258:                              ;   in Loop: Header=BB4_129 Depth=3
	s_delay_alu instid0(SALU_CYCLE_1) | instskip(NEXT) | instid1(VALU_DEP_1)
	s_or_b32 exec_lo, exec_lo, s21
	v_dual_max_num_f32 v5, v47, v47 :: v_dual_max_num_f32 v17, v46, v46
                                        ; implicit-def: $vgpr45
	s_delay_alu instid0(VALU_DEP_1)
	v_max_num_f32_e32 v44, v17, v5
                                        ; implicit-def: $vgpr5
                                        ; implicit-def: $vgpr17
.LBB4_259:                              ;   in Loop: Header=BB4_129 Depth=3
	s_and_not1_saveexec_b32 s9, s20
	s_cbranch_execz .LBB4_277
; %bb.260:                              ;   in Loop: Header=BB4_129 Depth=3
	v_dual_mov_b32 v47, 0 :: v_dual_mov_b32 v46, 0
	s_and_saveexec_b32 s20, vcc_lo
	s_cbranch_execz .LBB4_268
; %bb.261:                              ;   in Loop: Header=BB4_129 Depth=3
	v_bfrev_b32_e32 v46, 1
	s_mov_b32 s21, exec_lo
	v_cmpx_ne_u16_e32 0x80, v45
	s_cbranch_execz .LBB4_267
; %bb.262:                              ;   in Loop: Header=BB4_129 Depth=3
	v_bfe_u32 v73, v16, 16, 7
	v_mov_b32_e32 v46, 0x7f800001
	s_mov_b32 s22, exec_lo
	s_delay_alu instid0(VALU_DEP_2)
	v_cmpx_ne_u32_e32 0x7f, v73
	s_cbranch_execz .LBB4_266
; %bb.263:                              ;   in Loop: Header=BB4_129 Depth=3
	v_dual_mov_b32 v45, v55 :: v_dual_bitop2_b32 v44, 7, v17 bitop3:0x40
	v_lshrrev_b32_e32 v46, 3, v73
	s_mov_b32 s23, exec_lo
	v_cmpx_gt_u32_e32 8, v73
; %bb.264:                              ;   in Loop: Header=BB4_129 Depth=3
	s_delay_alu instid0(VALU_DEP_3) | instskip(NEXT) | instid1(VALU_DEP_1)
	v_clz_i32_u32_e32 v46, v44
	v_min_u32_e32 v46, 32, v46
	s_delay_alu instid0(VALU_DEP_1) | instskip(NEXT) | instid1(VALU_DEP_1)
	v_subrev_nc_u32_e32 v73, 28, v46
	v_lshlrev_b64_e32 v[44:45], v73, v[44:45]
	s_delay_alu instid0(VALU_DEP_1)
	v_dual_sub_nc_u32 v46, 29, v46 :: v_dual_bitop2_b32 v44, 7, v44 bitop3:0x40
; %bb.265:                              ;   in Loop: Header=BB4_129 Depth=3
	s_or_b32 exec_lo, exec_lo, s23
	s_delay_alu instid0(VALU_DEP_1) | instskip(NEXT) | instid1(VALU_DEP_2)
	v_dual_lshlrev_b32 v17, 24, v17 :: v_dual_lshlrev_b32 v44, 20, v44
	v_lshl_add_u32 v45, v46, 23, 0x3c000000
	s_delay_alu instid0(VALU_DEP_2) | instskip(NEXT) | instid1(VALU_DEP_1)
	v_and_b32_e32 v17, 0x80000000, v17
	v_or3_b32 v46, v44, v17, v45
.LBB4_266:                              ;   in Loop: Header=BB4_129 Depth=3
	s_or_b32 exec_lo, exec_lo, s22
.LBB4_267:                              ;   in Loop: Header=BB4_129 Depth=3
	s_delay_alu instid0(SALU_CYCLE_1)
	s_or_b32 exec_lo, exec_lo, s21
.LBB4_268:                              ;   in Loop: Header=BB4_129 Depth=3
	s_delay_alu instid0(SALU_CYCLE_1) | instskip(SKIP_2) | instid1(VALU_DEP_1)
	s_or_b32 exec_lo, exec_lo, s20
	v_and_b32_e32 v17, 0xff, v5
	s_mov_b32 s20, exec_lo
	v_cmpx_ne_u16_e32 0, v17
	s_cbranch_execz .LBB4_276
; %bb.269:                              ;   in Loop: Header=BB4_129 Depth=3
	v_bfrev_b32_e32 v47, 1
	s_mov_b32 s21, exec_lo
	v_cmpx_ne_u16_e32 0x80, v17
	s_cbranch_execz .LBB4_275
; %bb.270:                              ;   in Loop: Header=BB4_129 Depth=3
	v_bfe_u32 v73, v4, 16, 7
	v_mov_b32_e32 v47, 0x7f800001
	s_mov_b32 s22, exec_lo
	s_delay_alu instid0(VALU_DEP_2)
	v_cmpx_ne_u32_e32 0x7f, v73
	s_cbranch_execz .LBB4_274
; %bb.271:                              ;   in Loop: Header=BB4_129 Depth=3
	v_dual_mov_b32 v45, v55 :: v_dual_bitop2_b32 v44, 7, v5 bitop3:0x40
	v_lshrrev_b32_e32 v17, 3, v73
	s_mov_b32 s23, exec_lo
	v_cmpx_gt_u32_e32 8, v73
; %bb.272:                              ;   in Loop: Header=BB4_129 Depth=3
	s_delay_alu instid0(VALU_DEP_3) | instskip(NEXT) | instid1(VALU_DEP_1)
	v_clz_i32_u32_e32 v17, v44
	v_min_u32_e32 v17, 32, v17
	s_delay_alu instid0(VALU_DEP_1) | instskip(NEXT) | instid1(VALU_DEP_1)
	v_subrev_nc_u32_e32 v47, 28, v17
	v_lshlrev_b64_e32 v[44:45], v47, v[44:45]
	s_delay_alu instid0(VALU_DEP_1)
	v_dual_sub_nc_u32 v17, 29, v17 :: v_dual_bitop2_b32 v44, 7, v44 bitop3:0x40
; %bb.273:                              ;   in Loop: Header=BB4_129 Depth=3
	s_or_b32 exec_lo, exec_lo, s23
	s_delay_alu instid0(VALU_DEP_1) | instskip(NEXT) | instid1(VALU_DEP_2)
	v_dual_lshlrev_b32 v5, 24, v5 :: v_dual_lshlrev_b32 v44, 20, v44
	v_lshl_add_u32 v17, v17, 23, 0x3c000000
	s_delay_alu instid0(VALU_DEP_2) | instskip(NEXT) | instid1(VALU_DEP_1)
	v_and_b32_e32 v5, 0x80000000, v5
	v_or3_b32 v47, v44, v5, v17
.LBB4_274:                              ;   in Loop: Header=BB4_129 Depth=3
	s_or_b32 exec_lo, exec_lo, s22
.LBB4_275:                              ;   in Loop: Header=BB4_129 Depth=3
	s_delay_alu instid0(SALU_CYCLE_1)
	s_or_b32 exec_lo, exec_lo, s21
.LBB4_276:                              ;   in Loop: Header=BB4_129 Depth=3
	s_delay_alu instid0(SALU_CYCLE_1) | instskip(NEXT) | instid1(VALU_DEP_1)
	s_or_b32 exec_lo, exec_lo, s20
	v_dual_max_num_f32 v5, v47, v47 :: v_dual_max_num_f32 v17, v46, v46
	s_delay_alu instid0(VALU_DEP_1)
	v_min_num_f32_e32 v44, v17, v5
.LBB4_277:                              ;   in Loop: Header=BB4_129 Depth=3
	s_or_b32 exec_lo, exec_lo, s9
	s_delay_alu instid0(VALU_DEP_1) | instskip(SKIP_1) | instid1(VALU_DEP_1)
	v_and_b32_e32 v46, 0x7f800000, v44
	v_dual_mov_b32 v47, v55 :: v_dual_lshrrev_b32 v5, 24, v44
	v_cmp_ne_u64_e32 vcc_lo, 0x7f800000, v[46:47]
                                        ; implicit-def: $vgpr46
	s_and_saveexec_b32 s9, vcc_lo
	s_delay_alu instid0(SALU_CYCLE_1)
	s_xor_b32 s20, exec_lo, s9
	s_cbranch_execz .LBB4_291
; %bb.278:                              ;   in Loop: Header=BB4_129 Depth=3
	v_and_b32_e32 v46, 0x7fffffff, v44
	v_mov_b32_e32 v47, v55
	v_and_b32_e32 v5, 0x80, v5
	s_delay_alu instid0(VALU_DEP_2) | instskip(SKIP_1) | instid1(SALU_CYCLE_1)
	v_cmp_gt_u64_e32 vcc_lo, 0x43e00001, v[46:47]
                                        ; implicit-def: $vgpr46
	s_and_saveexec_b32 s9, vcc_lo
	s_xor_b32 s21, exec_lo, s9
	s_cbranch_execz .LBB4_288
; %bb.279:                              ;   in Loop: Header=BB4_129 Depth=3
	v_mov_b32_e32 v46, 0
	s_mov_b32 s22, exec_lo
	v_cmpx_ne_u32_e32 0, v44
	s_cbranch_execz .LBB4_287
; %bb.280:                              ;   in Loop: Header=BB4_129 Depth=3
	v_bfe_u32 v17, v44, 23, 8
	v_and_b32_e32 v46, 0x7fffff, v44
	s_mov_b32 s23, exec_lo
	s_delay_alu instid0(VALU_DEP_2) | instskip(NEXT) | instid1(VALU_DEP_2)
	v_cmp_gt_u32_e32 vcc_lo, 0x7a, v17
	v_or_b32_e32 v47, 0x800000, v46
	v_sub_nc_u32_e32 v45, 0x79, v17
	s_delay_alu instid0(VALU_DEP_1) | instskip(SKIP_1) | instid1(VALU_DEP_4)
	v_cndmask_b32_e32 v45, 0, v45, vcc_lo
	v_cmp_eq_u32_e32 vcc_lo, 0, v17
	v_cndmask_b32_e32 v46, v47, v46, vcc_lo
	v_mov_b32_e32 v47, v55
	s_delay_alu instid0(VALU_DEP_4) | instskip(NEXT) | instid1(VALU_DEP_1)
	v_cndmask_b32_e64 v73, v45, 0x78, vcc_lo
	v_dual_add_nc_u32 v44, 20, v73 :: v_dual_add_nc_u32 v74, 19, v73
	s_delay_alu instid0(VALU_DEP_1) | instskip(NEXT) | instid1(VALU_DEP_2)
	v_lshlrev_b64_e64 v[44:45], v44, -1
	v_lshlrev_b64_e64 v[74:75], v74, 1
	s_delay_alu instid0(VALU_DEP_2) | instskip(NEXT) | instid1(VALU_DEP_3)
	v_bfi_b32 v77, v45, 0, 0
	v_bfi_b32 v76, v44, 0, v46
	v_lshrrev_b64 v[44:45], v73, v[46:47]
	s_delay_alu instid0(VALU_DEP_1) | instskip(NEXT) | instid1(VALU_DEP_3)
	v_mov_b64_e32 v[46:47], v[44:45]
	v_cmpx_eq_u64_e64 v[76:77], v[74:75]
; %bb.281:                              ;   in Loop: Header=BB4_129 Depth=3
	v_bfe_u32 v46, v44, 20, 1
	v_mov_b32_e32 v47, v55
	s_delay_alu instid0(VALU_DEP_1) | instskip(NEXT) | instid1(VALU_DEP_1)
	v_add_nc_u64_e32 v[46:47], v[44:45], v[46:47]
	v_add_nc_u64_e32 v[46:47], -1, v[46:47]
; %bb.282:                              ;   in Loop: Header=BB4_129 Depth=3
	s_or_b32 exec_lo, exec_lo, s23
	v_add_nc_u32_e32 v17, 0xffffff81, v17
	v_lshrrev_b32_e32 v45, 23, v44
	s_mov_b32 s9, exec_lo
	s_delay_alu instid0(VALU_DEP_2) | instskip(NEXT) | instid1(VALU_DEP_1)
	v_cndmask_b32_e64 v17, v17, 0xffffff82, vcc_lo
	v_add3_u32 v47, v73, v17, v45
	v_and_b32_e32 v17, 0xfffff, v46
	s_delay_alu instid0(VALU_DEP_2) | instskip(NEXT) | instid1(VALU_DEP_2)
	v_dual_mov_b32 v45, v55 :: v_dual_add_nc_u32 v46, 6, v47
	v_add_nc_u32_e32 v44, v17, v44
                                        ; implicit-def: $vgpr17
	s_delay_alu instid0(VALU_DEP_2)
	v_cmpx_ne_u32_e32 0, v46
	s_xor_b32 s9, exec_lo, s9
; %bb.283:                              ;   in Loop: Header=BB4_129 Depth=3
	s_delay_alu instid0(VALU_DEP_2) | instskip(SKIP_1) | instid1(VALU_DEP_1)
	v_cmp_lt_u64_e32 vcc_lo, 0xffffff, v[44:45]
	v_add_nc_u32_e32 v17, 7, v47
	v_cndmask_b32_e32 v17, v46, v17, vcc_lo
	v_cndmask_b32_e64 v46, 0, 1, vcc_lo
	s_delay_alu instid0(VALU_DEP_1)
	v_lshrrev_b64 v[44:45], v46, v[44:45]
; %bb.284:                              ;   in Loop: Header=BB4_129 Depth=3
	s_and_not1_saveexec_b32 s9, s9
; %bb.285:                              ;   in Loop: Header=BB4_129 Depth=3
	s_delay_alu instid0(VALU_DEP_1)
	v_bfe_u32 v17, v44, 23, 1
; %bb.286:                              ;   in Loop: Header=BB4_129 Depth=3
	s_or_b32 exec_lo, exec_lo, s9
	s_delay_alu instid0(VALU_DEP_2) | instskip(NEXT) | instid1(VALU_DEP_2)
	v_lshrrev_b64 v[44:45], 20, v[44:45]
	v_cmp_gt_i32_e32 vcc_lo, 16, v17
	v_min_i32_e32 v46, 15, v17
	v_cmp_eq_u32_e64 s9, 0, v17
	s_delay_alu instid0(VALU_DEP_2) | instskip(SKIP_1) | instid1(VALU_DEP_2)
	v_dual_cndmask_b32 v44, 7, v44, vcc_lo :: v_dual_lshlrev_b32 v46, 3, v46
	v_cndmask_b32_e32 v45, 0, v45, vcc_lo
	v_and_b32_e32 v46, 0xf8, v46
	s_delay_alu instid0(VALU_DEP_2) | instskip(NEXT) | instid1(VALU_DEP_2)
	v_cmp_eq_u64_e32 vcc_lo, 0, v[44:45]
	v_and_or_b32 v17, v44, 7, v46
	s_and_b32 s9, s9, vcc_lo
	s_delay_alu instid0(VALU_DEP_1) | instid1(SALU_CYCLE_1)
	v_cndmask_b32_e64 v17, v17, 0, s9
	s_delay_alu instid0(VALU_DEP_1)
	v_or_b32_e32 v46, v17, v5
.LBB4_287:                              ;   in Loop: Header=BB4_129 Depth=3
	s_or_b32 exec_lo, exec_lo, s22
                                        ; implicit-def: $vgpr5
.LBB4_288:                              ;   in Loop: Header=BB4_129 Depth=3
	s_and_not1_saveexec_b32 s9, s21
; %bb.289:                              ;   in Loop: Header=BB4_129 Depth=3
	v_or_b32_e32 v46, 0x7e, v5
; %bb.290:                              ;   in Loop: Header=BB4_129 Depth=3
	s_or_b32 exec_lo, exec_lo, s9
                                        ; implicit-def: $vgpr5
.LBB4_291:                              ;   in Loop: Header=BB4_129 Depth=3
	s_and_not1_saveexec_b32 s9, s20
; %bb.292:                              ;   in Loop: Header=BB4_129 Depth=3
	v_or_b32_e32 v46, 0x7f, v5
; %bb.293:                              ;   in Loop: Header=BB4_129 Depth=3
	s_or_b32 exec_lo, exec_lo, s9
	v_lshrrev_b32_e32 v5, 24, v16
	v_lshrrev_b32_e32 v44, 24, v4
	v_cmp_lt_u32_e32 vcc_lo, 0xffffff, v16
                                        ; implicit-def: $vgpr17
	s_and_saveexec_b32 s9, s6
	s_delay_alu instid0(SALU_CYCLE_1)
	s_xor_b32 s20, exec_lo, s9
	s_cbranch_execz .LBB4_311
; %bb.294:                              ;   in Loop: Header=BB4_129 Depth=3
	v_dual_mov_b32 v45, 0 :: v_dual_mov_b32 v17, 0
	s_and_saveexec_b32 s21, vcc_lo
	s_cbranch_execz .LBB4_302
; %bb.295:                              ;   in Loop: Header=BB4_129 Depth=3
	v_bfrev_b32_e32 v17, 1
	s_mov_b32 s22, exec_lo
	v_cmpx_ne_u32_e32 0x80, v5
	s_cbranch_execz .LBB4_301
; %bb.296:                              ;   in Loop: Header=BB4_129 Depth=3
	v_bfe_u32 v73, v16, 24, 7
	v_mov_b32_e32 v17, 0x7f800001
	s_mov_b32 s23, exec_lo
	s_delay_alu instid0(VALU_DEP_2)
	v_cmpx_ne_u32_e32 0x7f, v73
	s_cbranch_execz .LBB4_300
; %bb.297:                              ;   in Loop: Header=BB4_129 Depth=3
	v_dual_mov_b32 v17, v55 :: v_dual_bitop2_b32 v16, 7, v5 bitop3:0x40
	v_lshrrev_b32_e32 v47, 3, v73
	s_mov_b32 s24, exec_lo
	v_cmpx_gt_u32_e32 8, v73
; %bb.298:                              ;   in Loop: Header=BB4_129 Depth=3
	s_delay_alu instid0(VALU_DEP_3) | instskip(NEXT) | instid1(VALU_DEP_1)
	v_clz_i32_u32_e32 v47, v16
	v_min_u32_e32 v47, 32, v47
	s_delay_alu instid0(VALU_DEP_1) | instskip(NEXT) | instid1(VALU_DEP_1)
	v_subrev_nc_u32_e32 v73, 28, v47
	v_lshlrev_b64_e32 v[16:17], v73, v[16:17]
	s_delay_alu instid0(VALU_DEP_1)
	v_dual_sub_nc_u32 v47, 29, v47 :: v_dual_bitop2_b32 v16, 7, v16 bitop3:0x40
; %bb.299:                              ;   in Loop: Header=BB4_129 Depth=3
	s_or_b32 exec_lo, exec_lo, s24
	s_delay_alu instid0(VALU_DEP_1) | instskip(NEXT) | instid1(VALU_DEP_2)
	v_dual_lshlrev_b32 v5, 24, v5 :: v_dual_lshlrev_b32 v16, 20, v16
	v_lshl_add_u32 v17, v47, 23, 0x3c000000
	s_delay_alu instid0(VALU_DEP_2) | instskip(NEXT) | instid1(VALU_DEP_1)
	v_and_b32_e32 v5, 0x80000000, v5
	v_or3_b32 v17, v16, v5, v17
.LBB4_300:                              ;   in Loop: Header=BB4_129 Depth=3
	s_or_b32 exec_lo, exec_lo, s23
.LBB4_301:                              ;   in Loop: Header=BB4_129 Depth=3
	s_delay_alu instid0(SALU_CYCLE_1)
	s_or_b32 exec_lo, exec_lo, s22
.LBB4_302:                              ;   in Loop: Header=BB4_129 Depth=3
	s_delay_alu instid0(SALU_CYCLE_1) | instskip(NEXT) | instid1(SALU_CYCLE_1)
	s_or_b32 exec_lo, exec_lo, s21
	s_mov_b32 s21, exec_lo
	v_cmpx_lt_u32_e32 0xffffff, v4
	s_cbranch_execz .LBB4_310
; %bb.303:                              ;   in Loop: Header=BB4_129 Depth=3
	v_bfrev_b32_e32 v45, 1
	s_mov_b32 s22, exec_lo
	v_cmpx_ne_u32_e32 0x80, v44
	s_cbranch_execz .LBB4_309
; %bb.304:                              ;   in Loop: Header=BB4_129 Depth=3
	v_bfe_u32 v47, v4, 24, 7
	v_mov_b32_e32 v45, 0x7f800001
	s_mov_b32 s23, exec_lo
	s_delay_alu instid0(VALU_DEP_2)
	v_cmpx_ne_u32_e32 0x7f, v47
	s_cbranch_execz .LBB4_308
; %bb.305:                              ;   in Loop: Header=BB4_129 Depth=3
	v_dual_mov_b32 v5, v55 :: v_dual_bitop2_b32 v4, 7, v44 bitop3:0x40
	v_lshrrev_b32_e32 v16, 3, v47
	s_mov_b32 s24, exec_lo
	v_cmpx_gt_u32_e32 8, v47
; %bb.306:                              ;   in Loop: Header=BB4_129 Depth=3
	s_delay_alu instid0(VALU_DEP_3) | instskip(NEXT) | instid1(VALU_DEP_1)
	v_clz_i32_u32_e32 v16, v4
	v_min_u32_e32 v16, 32, v16
	s_delay_alu instid0(VALU_DEP_1) | instskip(SKIP_1) | instid1(VALU_DEP_2)
	v_subrev_nc_u32_e32 v45, 28, v16
	v_sub_nc_u32_e32 v16, 29, v16
	v_lshlrev_b64_e32 v[4:5], v45, v[4:5]
	s_delay_alu instid0(VALU_DEP_1)
	v_and_b32_e32 v4, 7, v4
; %bb.307:                              ;   in Loop: Header=BB4_129 Depth=3
	s_or_b32 exec_lo, exec_lo, s24
	v_lshlrev_b32_e32 v5, 24, v44
	s_delay_alu instid0(VALU_DEP_2) | instskip(SKIP_1) | instid1(VALU_DEP_3)
	v_lshlrev_b32_e32 v4, 20, v4
	v_lshl_add_u32 v16, v16, 23, 0x3c000000
	v_and_b32_e32 v5, 0x80000000, v5
	s_delay_alu instid0(VALU_DEP_1)
	v_or3_b32 v45, v4, v5, v16
.LBB4_308:                              ;   in Loop: Header=BB4_129 Depth=3
	s_or_b32 exec_lo, exec_lo, s23
.LBB4_309:                              ;   in Loop: Header=BB4_129 Depth=3
	s_delay_alu instid0(SALU_CYCLE_1)
	s_or_b32 exec_lo, exec_lo, s22
.LBB4_310:                              ;   in Loop: Header=BB4_129 Depth=3
	s_delay_alu instid0(SALU_CYCLE_1) | instskip(NEXT) | instid1(VALU_DEP_1)
	s_or_b32 exec_lo, exec_lo, s21
	v_max_num_f32_e32 v4, v45, v45
	v_max_num_f32_e32 v5, v17, v17
                                        ; implicit-def: $vgpr44
	s_delay_alu instid0(VALU_DEP_1)
	v_max_num_f32_e32 v17, v5, v4
                                        ; implicit-def: $vgpr4_vgpr5
                                        ; implicit-def: $vgpr5
.LBB4_311:                              ;   in Loop: Header=BB4_129 Depth=3
	s_and_not1_saveexec_b32 s9, s20
	s_cbranch_execz .LBB4_329
; %bb.312:                              ;   in Loop: Header=BB4_129 Depth=3
	v_dual_mov_b32 v45, 0 :: v_dual_mov_b32 v17, 0
	s_and_saveexec_b32 s20, vcc_lo
	s_cbranch_execz .LBB4_320
; %bb.313:                              ;   in Loop: Header=BB4_129 Depth=3
	v_bfrev_b32_e32 v17, 1
	s_mov_b32 s21, exec_lo
	v_cmpx_ne_u32_e32 0x80, v5
	s_cbranch_execz .LBB4_319
; %bb.314:                              ;   in Loop: Header=BB4_129 Depth=3
	v_bfe_u32 v73, v16, 24, 7
	v_mov_b32_e32 v17, 0x7f800001
	s_mov_b32 s22, exec_lo
	s_delay_alu instid0(VALU_DEP_2)
	v_cmpx_ne_u32_e32 0x7f, v73
	s_cbranch_execz .LBB4_318
; %bb.315:                              ;   in Loop: Header=BB4_129 Depth=3
	v_dual_mov_b32 v17, v55 :: v_dual_bitop2_b32 v16, 7, v5 bitop3:0x40
	v_lshrrev_b32_e32 v47, 3, v73
	s_mov_b32 s23, exec_lo
	v_cmpx_gt_u32_e32 8, v73
; %bb.316:                              ;   in Loop: Header=BB4_129 Depth=3
	s_delay_alu instid0(VALU_DEP_3) | instskip(NEXT) | instid1(VALU_DEP_1)
	v_clz_i32_u32_e32 v47, v16
	v_min_u32_e32 v47, 32, v47
	s_delay_alu instid0(VALU_DEP_1) | instskip(NEXT) | instid1(VALU_DEP_1)
	v_subrev_nc_u32_e32 v73, 28, v47
	v_lshlrev_b64_e32 v[16:17], v73, v[16:17]
	s_delay_alu instid0(VALU_DEP_1)
	v_dual_sub_nc_u32 v47, 29, v47 :: v_dual_bitop2_b32 v16, 7, v16 bitop3:0x40
; %bb.317:                              ;   in Loop: Header=BB4_129 Depth=3
	s_or_b32 exec_lo, exec_lo, s23
	s_delay_alu instid0(VALU_DEP_1) | instskip(NEXT) | instid1(VALU_DEP_2)
	v_dual_lshlrev_b32 v5, 24, v5 :: v_dual_lshlrev_b32 v16, 20, v16
	v_lshl_add_u32 v17, v47, 23, 0x3c000000
	s_delay_alu instid0(VALU_DEP_2) | instskip(NEXT) | instid1(VALU_DEP_1)
	v_and_b32_e32 v5, 0x80000000, v5
	v_or3_b32 v17, v16, v5, v17
.LBB4_318:                              ;   in Loop: Header=BB4_129 Depth=3
	s_or_b32 exec_lo, exec_lo, s22
.LBB4_319:                              ;   in Loop: Header=BB4_129 Depth=3
	s_delay_alu instid0(SALU_CYCLE_1)
	s_or_b32 exec_lo, exec_lo, s21
.LBB4_320:                              ;   in Loop: Header=BB4_129 Depth=3
	s_delay_alu instid0(SALU_CYCLE_1) | instskip(NEXT) | instid1(SALU_CYCLE_1)
	s_or_b32 exec_lo, exec_lo, s20
	s_mov_b32 s20, exec_lo
	v_cmpx_lt_u32_e32 0xffffff, v4
	s_cbranch_execz .LBB4_328
; %bb.321:                              ;   in Loop: Header=BB4_129 Depth=3
	v_bfrev_b32_e32 v45, 1
	s_mov_b32 s21, exec_lo
	v_cmpx_ne_u32_e32 0x80, v44
	s_cbranch_execz .LBB4_327
; %bb.322:                              ;   in Loop: Header=BB4_129 Depth=3
	v_bfe_u32 v47, v4, 24, 7
	v_mov_b32_e32 v45, 0x7f800001
	s_mov_b32 s22, exec_lo
	s_delay_alu instid0(VALU_DEP_2)
	v_cmpx_ne_u32_e32 0x7f, v47
	s_cbranch_execz .LBB4_326
; %bb.323:                              ;   in Loop: Header=BB4_129 Depth=3
	v_dual_mov_b32 v5, v55 :: v_dual_bitop2_b32 v4, 7, v44 bitop3:0x40
	v_lshrrev_b32_e32 v16, 3, v47
	s_mov_b32 s23, exec_lo
	v_cmpx_gt_u32_e32 8, v47
; %bb.324:                              ;   in Loop: Header=BB4_129 Depth=3
	s_delay_alu instid0(VALU_DEP_3) | instskip(NEXT) | instid1(VALU_DEP_1)
	v_clz_i32_u32_e32 v16, v4
	v_min_u32_e32 v16, 32, v16
	s_delay_alu instid0(VALU_DEP_1) | instskip(SKIP_1) | instid1(VALU_DEP_2)
	v_subrev_nc_u32_e32 v45, 28, v16
	v_sub_nc_u32_e32 v16, 29, v16
	v_lshlrev_b64_e32 v[4:5], v45, v[4:5]
	s_delay_alu instid0(VALU_DEP_1)
	v_and_b32_e32 v4, 7, v4
; %bb.325:                              ;   in Loop: Header=BB4_129 Depth=3
	s_or_b32 exec_lo, exec_lo, s23
	v_lshlrev_b32_e32 v5, 24, v44
	s_delay_alu instid0(VALU_DEP_2) | instskip(SKIP_1) | instid1(VALU_DEP_3)
	v_lshlrev_b32_e32 v4, 20, v4
	v_lshl_add_u32 v16, v16, 23, 0x3c000000
	v_and_b32_e32 v5, 0x80000000, v5
	s_delay_alu instid0(VALU_DEP_1)
	v_or3_b32 v45, v4, v5, v16
.LBB4_326:                              ;   in Loop: Header=BB4_129 Depth=3
	s_or_b32 exec_lo, exec_lo, s22
.LBB4_327:                              ;   in Loop: Header=BB4_129 Depth=3
	s_delay_alu instid0(SALU_CYCLE_1)
	s_or_b32 exec_lo, exec_lo, s21
.LBB4_328:                              ;   in Loop: Header=BB4_129 Depth=3
	s_delay_alu instid0(SALU_CYCLE_1) | instskip(NEXT) | instid1(VALU_DEP_1)
	s_or_b32 exec_lo, exec_lo, s20
	v_max_num_f32_e32 v4, v45, v45
	v_max_num_f32_e32 v5, v17, v17
	s_delay_alu instid0(VALU_DEP_1)
	v_min_num_f32_e32 v17, v5, v4
.LBB4_329:                              ;   in Loop: Header=BB4_129 Depth=3
	s_or_b32 exec_lo, exec_lo, s9
	s_delay_alu instid0(VALU_DEP_1) | instskip(SKIP_1) | instid1(VALU_DEP_1)
	v_and_b32_e32 v4, 0x7f800000, v17
	v_mov_b32_e32 v5, v55
                                        ; implicit-def: $vgpr47
	v_cmp_ne_u64_e32 vcc_lo, 0x7f800000, v[4:5]
	v_lshrrev_b32_e32 v4, 24, v17
	s_and_saveexec_b32 s9, vcc_lo
	s_delay_alu instid0(SALU_CYCLE_1)
	s_xor_b32 s20, exec_lo, s9
	s_cbranch_execz .LBB4_343
; %bb.330:                              ;   in Loop: Header=BB4_129 Depth=3
	v_and_b32_e32 v44, 0x7fffffff, v17
	v_mov_b32_e32 v45, v55
                                        ; implicit-def: $vgpr47
	s_delay_alu instid0(VALU_DEP_1) | instskip(SKIP_2) | instid1(SALU_CYCLE_1)
	v_cmp_gt_u64_e32 vcc_lo, 0x43e00001, v[44:45]
	v_and_b32_e32 v44, 0x80, v4
	s_and_saveexec_b32 s9, vcc_lo
	s_xor_b32 s21, exec_lo, s9
	s_cbranch_execz .LBB4_340
; %bb.331:                              ;   in Loop: Header=BB4_129 Depth=3
	v_mov_b32_e32 v47, 0
	s_mov_b32 s22, exec_lo
	v_cmpx_ne_u32_e32 0, v17
	s_cbranch_execz .LBB4_339
; %bb.332:                              ;   in Loop: Header=BB4_129 Depth=3
	v_bfe_u32 v45, v17, 23, 8
	v_and_b32_e32 v16, 0x7fffff, v17
	s_mov_b32 s23, exec_lo
	s_delay_alu instid0(VALU_DEP_2) | instskip(SKIP_1) | instid1(VALU_DEP_3)
	v_sub_nc_u32_e32 v4, 0x79, v45
	v_cmp_gt_u32_e32 vcc_lo, 0x7a, v45
	v_or_b32_e32 v17, 0x800000, v16
	s_delay_alu instid0(VALU_DEP_3) | instskip(SKIP_1) | instid1(VALU_DEP_2)
	v_cndmask_b32_e32 v4, 0, v4, vcc_lo
	v_cmp_eq_u32_e32 vcc_lo, 0, v45
	v_cndmask_b32_e64 v47, v4, 0x78, vcc_lo
	s_delay_alu instid0(VALU_DEP_4) | instskip(NEXT) | instid1(VALU_DEP_2)
	v_dual_cndmask_b32 v16, v17, v16 :: v_dual_mov_b32 v17, v55
	v_dual_add_nc_u32 v4, 20, v47 :: v_dual_add_nc_u32 v73, 19, v47
	s_delay_alu instid0(VALU_DEP_1) | instskip(NEXT) | instid1(VALU_DEP_2)
	v_lshlrev_b64_e64 v[4:5], v4, -1
	v_lshlrev_b64_e64 v[74:75], v73, 1
	s_delay_alu instid0(VALU_DEP_2) | instskip(NEXT) | instid1(VALU_DEP_3)
	v_bfi_b32 v77, v5, 0, 0
	v_bfi_b32 v76, v4, 0, v16
	v_lshrrev_b64 v[4:5], v47, v[16:17]
	s_delay_alu instid0(VALU_DEP_1) | instskip(NEXT) | instid1(VALU_DEP_3)
	v_mov_b64_e32 v[16:17], v[4:5]
	v_cmpx_eq_u64_e64 v[76:77], v[74:75]
; %bb.333:                              ;   in Loop: Header=BB4_129 Depth=3
	v_bfe_u32 v16, v4, 20, 1
	v_mov_b32_e32 v17, v55
	s_delay_alu instid0(VALU_DEP_1) | instskip(NEXT) | instid1(VALU_DEP_1)
	v_add_nc_u64_e32 v[16:17], v[4:5], v[16:17]
	v_add_nc_u64_e32 v[16:17], -1, v[16:17]
; %bb.334:                              ;   in Loop: Header=BB4_129 Depth=3
	s_or_b32 exec_lo, exec_lo, s23
	v_add_nc_u32_e32 v5, 0xffffff81, v45
	v_lshrrev_b32_e32 v17, 23, v4
	s_mov_b32 s9, exec_lo
	s_delay_alu instid0(VALU_DEP_2) | instskip(NEXT) | instid1(VALU_DEP_1)
	v_cndmask_b32_e64 v5, v5, 0xffffff82, vcc_lo
	v_add3_u32 v17, v47, v5, v17
	v_and_b32_e32 v5, 0xfffff, v16
                                        ; implicit-def: $vgpr16
	s_delay_alu instid0(VALU_DEP_1) | instskip(SKIP_1) | instid1(VALU_DEP_2)
	v_dual_add_nc_u32 v45, 6, v17 :: v_dual_add_nc_u32 v4, v5, v4
	v_mov_b32_e32 v5, v55
	v_cmpx_ne_u32_e32 0, v45
	s_xor_b32 s9, exec_lo, s9
; %bb.335:                              ;   in Loop: Header=BB4_129 Depth=3
	s_delay_alu instid0(VALU_DEP_2) | instskip(SKIP_2) | instid1(VALU_DEP_2)
	v_cmp_lt_u64_e32 vcc_lo, 0xffffff, v[4:5]
	v_add_nc_u32_e32 v16, 7, v17
	v_cndmask_b32_e64 v17, 0, 1, vcc_lo
	v_cndmask_b32_e32 v16, v45, v16, vcc_lo
	s_delay_alu instid0(VALU_DEP_2)
	v_lshrrev_b64 v[4:5], v17, v[4:5]
; %bb.336:                              ;   in Loop: Header=BB4_129 Depth=3
	s_and_not1_saveexec_b32 s9, s9
; %bb.337:                              ;   in Loop: Header=BB4_129 Depth=3
	s_delay_alu instid0(VALU_DEP_1)
	v_bfe_u32 v16, v4, 23, 1
; %bb.338:                              ;   in Loop: Header=BB4_129 Depth=3
	s_or_b32 exec_lo, exec_lo, s9
	s_delay_alu instid0(VALU_DEP_2) | instskip(NEXT) | instid1(VALU_DEP_2)
	v_lshrrev_b64 v[4:5], 20, v[4:5]
	v_cmp_gt_i32_e32 vcc_lo, 16, v16
	v_min_i32_e32 v17, 15, v16
	v_cmp_eq_u32_e64 s9, 0, v16
	s_delay_alu instid0(VALU_DEP_4) | instskip(NEXT) | instid1(VALU_DEP_3)
	v_cndmask_b32_e32 v5, 0, v5, vcc_lo
	v_dual_cndmask_b32 v4, 7, v4 :: v_dual_lshlrev_b32 v17, 3, v17
	s_delay_alu instid0(VALU_DEP_1) | instskip(NEXT) | instid1(VALU_DEP_2)
	v_and_b32_e32 v17, 0xf8, v17
	v_cmp_eq_u64_e32 vcc_lo, 0, v[4:5]
	s_delay_alu instid0(VALU_DEP_2)
	v_and_or_b32 v4, v4, 7, v17
	s_and_b32 s9, s9, vcc_lo
	s_delay_alu instid0(VALU_DEP_1) | instid1(SALU_CYCLE_1)
	v_cndmask_b32_e64 v4, v4, 0, s9
	s_delay_alu instid0(VALU_DEP_1)
	v_or_b32_e32 v47, v4, v44
.LBB4_339:                              ;   in Loop: Header=BB4_129 Depth=3
	s_or_b32 exec_lo, exec_lo, s22
                                        ; implicit-def: $vgpr44
.LBB4_340:                              ;   in Loop: Header=BB4_129 Depth=3
	s_and_not1_saveexec_b32 s9, s21
; %bb.341:                              ;   in Loop: Header=BB4_129 Depth=3
	v_or_b32_e32 v47, 0x7e, v44
; %bb.342:                              ;   in Loop: Header=BB4_129 Depth=3
	s_or_b32 exec_lo, exec_lo, s9
                                        ; implicit-def: $vgpr4
.LBB4_343:                              ;   in Loop: Header=BB4_129 Depth=3
	s_and_not1_saveexec_b32 s9, s20
; %bb.344:                              ;   in Loop: Header=BB4_129 Depth=3
	v_or_b32_e32 v47, 0x7f, v4
; %bb.345:                              ;   in Loop: Header=BB4_129 Depth=3
	s_or_b32 exec_lo, exec_lo, s9
	v_and_b32_e32 v44, 0xff, v18
	v_alignbit_b32 v4, v63, v72, v19
	v_dual_mov_b32 v5, v55 :: v_dual_mov_b32 v19, v55
                                        ; implicit-def: $vgpr16
	s_delay_alu instid0(VALU_DEP_3) | instskip(SKIP_1) | instid1(SALU_CYCLE_1)
	v_cmp_ne_u16_e32 vcc_lo, 0, v44
	s_and_saveexec_b32 s9, s6
	s_xor_b32 s20, exec_lo, s9
	s_cbranch_execz .LBB4_359
; %bb.346:                              ;   in Loop: Header=BB4_129 Depth=3
	v_dual_mov_b32 v17, 0 :: v_dual_mov_b32 v16, 0
	s_and_saveexec_b32 s21, vcc_lo
	s_cbranch_execz .LBB4_352
; %bb.347:                              ;   in Loop: Header=BB4_129 Depth=3
	v_bfrev_b32_e32 v16, 1
	s_mov_b32 s22, exec_lo
	v_cmpx_ne_u16_e32 0x80, v44
	s_cbranch_execz .LBB4_351
; %bb.348:                              ;   in Loop: Header=BB4_129 Depth=3
	v_and_b32_e32 v44, 0x7f, v18
	v_mov_b32_e32 v16, 0x7f800001
	s_mov_b32 s23, exec_lo
	s_delay_alu instid0(VALU_DEP_2)
	v_cmpx_ne_u32_e32 0x7f, v44
	s_cbranch_execz .LBB4_350
; %bb.349:                              ;   in Loop: Header=BB4_129 Depth=3
	v_dual_lshrrev_b32 v45, 3, v44 :: v_dual_bitop2_b32 v16, 7, v18 bitop3:0x40
	v_cmp_gt_u32_e64 s9, 8, v44
	s_delay_alu instid0(VALU_DEP_2) | instskip(NEXT) | instid1(VALU_DEP_1)
	v_clz_i32_u32_e32 v16, v16
	v_min_u32_e32 v16, 32, v16
	s_delay_alu instid0(VALU_DEP_1) | instskip(NEXT) | instid1(VALU_DEP_1)
	v_subrev_nc_u32_e32 v63, 28, v16
	v_dual_sub_nc_u32 v16, 29, v16 :: v_dual_cndmask_b32 v44, 0, v63, s9
	s_delay_alu instid0(VALU_DEP_1) | instskip(NEXT) | instid1(VALU_DEP_2)
	v_cndmask_b32_e64 v16, v45, v16, s9
	v_lshlrev_b64_e32 v[44:45], v44, v[18:19]
	v_lshlrev_b32_e32 v19, 24, v18
	s_delay_alu instid0(VALU_DEP_3) | instskip(NEXT) | instid1(VALU_DEP_2)
	v_lshl_add_u32 v16, v16, 23, 0x3c000000
	v_and_b32_e32 v19, 0x80000000, v19
	s_delay_alu instid0(VALU_DEP_4) | instskip(NEXT) | instid1(VALU_DEP_1)
	v_lshlrev_b32_e32 v44, 20, v44
	v_and_b32_e32 v44, 0x700000, v44
	s_delay_alu instid0(VALU_DEP_1)
	v_or3_b32 v16, v44, v19, v16
.LBB4_350:                              ;   in Loop: Header=BB4_129 Depth=3
	s_or_b32 exec_lo, exec_lo, s23
.LBB4_351:                              ;   in Loop: Header=BB4_129 Depth=3
	s_delay_alu instid0(SALU_CYCLE_1)
	s_or_b32 exec_lo, exec_lo, s22
.LBB4_352:                              ;   in Loop: Header=BB4_129 Depth=3
	s_delay_alu instid0(SALU_CYCLE_1) | instskip(SKIP_2) | instid1(VALU_DEP_1)
	s_or_b32 exec_lo, exec_lo, s21
	v_and_b32_e32 v19, 0xff, v4
	s_mov_b32 s21, exec_lo
	v_cmpx_ne_u16_e32 0, v19
	s_cbranch_execz .LBB4_358
; %bb.353:                              ;   in Loop: Header=BB4_129 Depth=3
	v_bfrev_b32_e32 v17, 1
	s_mov_b32 s22, exec_lo
	v_cmpx_ne_u16_e32 0x80, v19
	s_cbranch_execz .LBB4_357
; %bb.354:                              ;   in Loop: Header=BB4_129 Depth=3
	v_and_b32_e32 v19, 0x7f, v4
	v_mov_b32_e32 v17, 0x7f800001
	s_mov_b32 s23, exec_lo
	s_delay_alu instid0(VALU_DEP_2)
	v_cmpx_ne_u32_e32 0x7f, v19
	s_cbranch_execz .LBB4_356
; %bb.355:                              ;   in Loop: Header=BB4_129 Depth=3
	v_dual_lshrrev_b32 v44, 3, v19 :: v_dual_bitop2_b32 v17, 7, v4 bitop3:0x40
	v_cmp_gt_u32_e64 s9, 8, v19
	s_delay_alu instid0(VALU_DEP_2) | instskip(NEXT) | instid1(VALU_DEP_1)
	v_clz_i32_u32_e32 v17, v17
	v_min_u32_e32 v17, 32, v17
	s_delay_alu instid0(VALU_DEP_1) | instskip(SKIP_1) | instid1(VALU_DEP_2)
	v_subrev_nc_u32_e32 v45, 28, v17
	v_sub_nc_u32_e32 v17, 29, v17
	v_cndmask_b32_e64 v19, 0, v45, s9
	s_delay_alu instid0(VALU_DEP_2) | instskip(NEXT) | instid1(VALU_DEP_2)
	v_cndmask_b32_e64 v17, v44, v17, s9
	v_lshlrev_b64_e32 v[44:45], v19, v[4:5]
	v_lshlrev_b32_e32 v19, 24, v4
	s_delay_alu instid0(VALU_DEP_1) | instskip(NEXT) | instid1(VALU_DEP_3)
	v_and_b32_e32 v19, 0x80000000, v19
	v_lshlrev_b32_e32 v44, 20, v44
	v_lshl_add_u32 v17, v17, 23, 0x3c000000
	s_delay_alu instid0(VALU_DEP_2) | instskip(NEXT) | instid1(VALU_DEP_1)
	v_and_b32_e32 v44, 0x700000, v44
	v_or3_b32 v17, v44, v19, v17
.LBB4_356:                              ;   in Loop: Header=BB4_129 Depth=3
	s_or_b32 exec_lo, exec_lo, s23
.LBB4_357:                              ;   in Loop: Header=BB4_129 Depth=3
	s_delay_alu instid0(SALU_CYCLE_1)
	s_or_b32 exec_lo, exec_lo, s22
.LBB4_358:                              ;   in Loop: Header=BB4_129 Depth=3
	s_delay_alu instid0(SALU_CYCLE_1) | instskip(NEXT) | instid1(VALU_DEP_1)
	s_or_b32 exec_lo, exec_lo, s21
	v_dual_max_num_f32 v17, v17, v17 :: v_dual_max_num_f32 v16, v16, v16
                                        ; implicit-def: $vgpr44
	s_delay_alu instid0(VALU_DEP_1)
	v_max_num_f32_e32 v16, v16, v17
.LBB4_359:                              ;   in Loop: Header=BB4_129 Depth=3
	s_and_not1_saveexec_b32 s9, s20
	s_cbranch_execz .LBB4_373
; %bb.360:                              ;   in Loop: Header=BB4_129 Depth=3
	v_dual_mov_b32 v17, 0 :: v_dual_mov_b32 v16, 0
	s_and_saveexec_b32 s20, vcc_lo
	s_cbranch_execz .LBB4_366
; %bb.361:                              ;   in Loop: Header=BB4_129 Depth=3
	v_bfrev_b32_e32 v16, 1
	s_mov_b32 s21, exec_lo
	v_cmpx_ne_u16_e32 0x80, v44
	s_cbranch_execz .LBB4_365
; %bb.362:                              ;   in Loop: Header=BB4_129 Depth=3
	v_and_b32_e32 v44, 0x7f, v18
	v_mov_b32_e32 v16, 0x7f800001
	s_mov_b32 s22, exec_lo
	s_delay_alu instid0(VALU_DEP_2)
	v_cmpx_ne_u32_e32 0x7f, v44
	s_cbranch_execz .LBB4_364
; %bb.363:                              ;   in Loop: Header=BB4_129 Depth=3
	v_dual_lshrrev_b32 v45, 3, v44 :: v_dual_bitop2_b32 v16, 7, v18 bitop3:0x40
	v_cmp_gt_u32_e32 vcc_lo, 8, v44
	s_delay_alu instid0(VALU_DEP_2) | instskip(NEXT) | instid1(VALU_DEP_1)
	v_clz_i32_u32_e32 v16, v16
	v_min_u32_e32 v16, 32, v16
	s_delay_alu instid0(VALU_DEP_1) | instskip(NEXT) | instid1(VALU_DEP_1)
	v_subrev_nc_u32_e32 v63, 28, v16
	v_dual_sub_nc_u32 v16, 29, v16 :: v_dual_cndmask_b32 v44, 0, v63, vcc_lo
	s_delay_alu instid0(VALU_DEP_1) | instskip(NEXT) | instid1(VALU_DEP_2)
	v_cndmask_b32_e32 v16, v45, v16, vcc_lo
	v_lshlrev_b64_e32 v[44:45], v44, v[18:19]
	v_lshlrev_b32_e32 v19, 24, v18
	s_delay_alu instid0(VALU_DEP_3) | instskip(NEXT) | instid1(VALU_DEP_2)
	v_lshl_add_u32 v16, v16, 23, 0x3c000000
	v_and_b32_e32 v19, 0x80000000, v19
	s_delay_alu instid0(VALU_DEP_4) | instskip(NEXT) | instid1(VALU_DEP_1)
	v_lshlrev_b32_e32 v44, 20, v44
	v_and_b32_e32 v44, 0x700000, v44
	s_delay_alu instid0(VALU_DEP_1)
	v_or3_b32 v16, v44, v19, v16
.LBB4_364:                              ;   in Loop: Header=BB4_129 Depth=3
	s_or_b32 exec_lo, exec_lo, s22
.LBB4_365:                              ;   in Loop: Header=BB4_129 Depth=3
	s_delay_alu instid0(SALU_CYCLE_1)
	s_or_b32 exec_lo, exec_lo, s21
.LBB4_366:                              ;   in Loop: Header=BB4_129 Depth=3
	s_delay_alu instid0(SALU_CYCLE_1) | instskip(SKIP_2) | instid1(VALU_DEP_1)
	s_or_b32 exec_lo, exec_lo, s20
	v_and_b32_e32 v19, 0xff, v4
	s_mov_b32 s20, exec_lo
	v_cmpx_ne_u16_e32 0, v19
	s_cbranch_execz .LBB4_372
; %bb.367:                              ;   in Loop: Header=BB4_129 Depth=3
	v_bfrev_b32_e32 v17, 1
	s_mov_b32 s21, exec_lo
	v_cmpx_ne_u16_e32 0x80, v19
	s_cbranch_execz .LBB4_371
; %bb.368:                              ;   in Loop: Header=BB4_129 Depth=3
	v_and_b32_e32 v19, 0x7f, v4
	v_mov_b32_e32 v17, 0x7f800001
	s_mov_b32 s22, exec_lo
	s_delay_alu instid0(VALU_DEP_2)
	v_cmpx_ne_u32_e32 0x7f, v19
	s_cbranch_execz .LBB4_370
; %bb.369:                              ;   in Loop: Header=BB4_129 Depth=3
	v_dual_lshrrev_b32 v44, 3, v19 :: v_dual_bitop2_b32 v17, 7, v4 bitop3:0x40
	v_cmp_gt_u32_e32 vcc_lo, 8, v19
	s_delay_alu instid0(VALU_DEP_2) | instskip(NEXT) | instid1(VALU_DEP_1)
	v_clz_i32_u32_e32 v17, v17
	v_min_u32_e32 v17, 32, v17
	s_delay_alu instid0(VALU_DEP_1) | instskip(SKIP_1) | instid1(VALU_DEP_2)
	v_subrev_nc_u32_e32 v45, 28, v17
	v_sub_nc_u32_e32 v17, 29, v17
	v_cndmask_b32_e32 v19, 0, v45, vcc_lo
	s_delay_alu instid0(VALU_DEP_2) | instskip(NEXT) | instid1(VALU_DEP_2)
	v_cndmask_b32_e32 v17, v44, v17, vcc_lo
	v_lshlrev_b64_e32 v[44:45], v19, v[4:5]
	v_lshlrev_b32_e32 v5, 24, v4
	s_delay_alu instid0(VALU_DEP_1) | instskip(NEXT) | instid1(VALU_DEP_3)
	v_and_b32_e32 v5, 0x80000000, v5
	v_lshlrev_b32_e32 v19, 20, v44
	v_lshl_add_u32 v17, v17, 23, 0x3c000000
	s_delay_alu instid0(VALU_DEP_2) | instskip(NEXT) | instid1(VALU_DEP_1)
	v_and_b32_e32 v19, 0x700000, v19
	v_or3_b32 v17, v19, v5, v17
.LBB4_370:                              ;   in Loop: Header=BB4_129 Depth=3
	s_or_b32 exec_lo, exec_lo, s22
.LBB4_371:                              ;   in Loop: Header=BB4_129 Depth=3
	s_delay_alu instid0(SALU_CYCLE_1)
	s_or_b32 exec_lo, exec_lo, s21
.LBB4_372:                              ;   in Loop: Header=BB4_129 Depth=3
	s_delay_alu instid0(SALU_CYCLE_1) | instskip(NEXT) | instid1(VALU_DEP_1)
	s_or_b32 exec_lo, exec_lo, s20
	v_dual_max_num_f32 v5, v17, v17 :: v_dual_max_num_f32 v16, v16, v16
	s_delay_alu instid0(VALU_DEP_1)
	v_min_num_f32_e32 v16, v16, v5
.LBB4_373:                              ;   in Loop: Header=BB4_129 Depth=3
	s_or_b32 exec_lo, exec_lo, s9
	s_delay_alu instid0(VALU_DEP_1) | instskip(SKIP_2) | instid1(VALU_DEP_1)
	v_and_b32_e32 v44, 0x7f800000, v16
	v_dual_mov_b32 v45, v55 :: v_dual_lshrrev_b32 v5, 24, v16
                                        ; implicit-def: $vgpr63
	s_mov_b32 s9, exec_lo
	v_cmpx_ne_u64_e32 0x7f800000, v[44:45]
	s_xor_b32 s20, exec_lo, s9
	s_cbranch_execz .LBB4_387
; %bb.374:                              ;   in Loop: Header=BB4_129 Depth=3
	v_and_b32_e32 v44, 0x7fffffff, v16
	v_mov_b32_e32 v45, v55
	v_and_b32_e32 v5, 0x80, v5
                                        ; implicit-def: $vgpr63
	s_mov_b32 s9, exec_lo
	s_delay_alu instid0(VALU_DEP_2)
	v_cmpx_gt_u64_e32 0x43e00001, v[44:45]
	s_xor_b32 s21, exec_lo, s9
	s_cbranch_execz .LBB4_384
; %bb.375:                              ;   in Loop: Header=BB4_129 Depth=3
	v_mov_b32_e32 v63, 0
	s_mov_b32 s22, exec_lo
	v_cmpx_ne_u32_e32 0, v16
	s_cbranch_execz .LBB4_383
; %bb.376:                              ;   in Loop: Header=BB4_129 Depth=3
	v_bfe_u32 v19, v16, 23, 8
	v_and_b32_e32 v44, 0x7fffff, v16
	s_mov_b32 s23, exec_lo
	s_delay_alu instid0(VALU_DEP_2) | instskip(NEXT) | instid1(VALU_DEP_2)
	v_cmp_gt_u32_e32 vcc_lo, 0x7a, v19
	v_or_b32_e32 v45, 0x800000, v44
	v_sub_nc_u32_e32 v17, 0x79, v19
	s_delay_alu instid0(VALU_DEP_1) | instskip(SKIP_1) | instid1(VALU_DEP_2)
	v_cndmask_b32_e32 v17, 0, v17, vcc_lo
	v_cmp_eq_u32_e32 vcc_lo, 0, v19
	v_cndmask_b32_e64 v63, v17, 0x78, vcc_lo
	v_dual_cndmask_b32 v44, v45, v44 :: v_dual_mov_b32 v45, v55
	s_delay_alu instid0(VALU_DEP_2) | instskip(NEXT) | instid1(VALU_DEP_1)
	v_dual_add_nc_u32 v72, 19, v63 :: v_dual_add_nc_u32 v16, 20, v63
	v_lshlrev_b64_e64 v[72:73], v72, 1
	s_delay_alu instid0(VALU_DEP_2) | instskip(NEXT) | instid1(VALU_DEP_1)
	v_lshlrev_b64_e64 v[16:17], v16, -1
	v_bfi_b32 v75, v17, 0, 0
	s_delay_alu instid0(VALU_DEP_2) | instskip(SKIP_1) | instid1(VALU_DEP_1)
	v_bfi_b32 v74, v16, 0, v44
	v_lshrrev_b64 v[16:17], v63, v[44:45]
	v_mov_b64_e32 v[44:45], v[16:17]
	s_delay_alu instid0(VALU_DEP_3)
	v_cmpx_eq_u64_e64 v[74:75], v[72:73]
; %bb.377:                              ;   in Loop: Header=BB4_129 Depth=3
	v_bfe_u32 v44, v16, 20, 1
	v_mov_b32_e32 v45, v55
	s_delay_alu instid0(VALU_DEP_1) | instskip(NEXT) | instid1(VALU_DEP_1)
	v_add_nc_u64_e32 v[44:45], v[16:17], v[44:45]
	v_add_nc_u64_e32 v[44:45], -1, v[44:45]
; %bb.378:                              ;   in Loop: Header=BB4_129 Depth=3
	s_or_b32 exec_lo, exec_lo, s23
	v_add_nc_u32_e32 v17, 0xffffff81, v19
	v_lshrrev_b32_e32 v19, 23, v16
	s_mov_b32 s9, exec_lo
	s_delay_alu instid0(VALU_DEP_2) | instskip(NEXT) | instid1(VALU_DEP_1)
	v_cndmask_b32_e64 v17, v17, 0xffffff82, vcc_lo
	v_add3_u32 v45, v63, v17, v19
	v_and_b32_e32 v17, 0xfffff, v44
                                        ; implicit-def: $vgpr19
	s_delay_alu instid0(VALU_DEP_1) | instskip(SKIP_1) | instid1(VALU_DEP_2)
	v_dual_add_nc_u32 v44, 6, v45 :: v_dual_add_nc_u32 v16, v17, v16
	v_mov_b32_e32 v17, v55
	v_cmpx_ne_u32_e32 0, v44
	s_xor_b32 s9, exec_lo, s9
; %bb.379:                              ;   in Loop: Header=BB4_129 Depth=3
	s_delay_alu instid0(VALU_DEP_2) | instskip(SKIP_1) | instid1(VALU_DEP_1)
	v_cmp_lt_u64_e32 vcc_lo, 0xffffff, v[16:17]
	v_add_nc_u32_e32 v19, 7, v45
	v_cndmask_b32_e32 v19, v44, v19, vcc_lo
	v_cndmask_b32_e64 v44, 0, 1, vcc_lo
	s_delay_alu instid0(VALU_DEP_1)
	v_lshrrev_b64 v[16:17], v44, v[16:17]
; %bb.380:                              ;   in Loop: Header=BB4_129 Depth=3
	s_and_not1_saveexec_b32 s9, s9
; %bb.381:                              ;   in Loop: Header=BB4_129 Depth=3
	s_delay_alu instid0(VALU_DEP_1)
	v_bfe_u32 v19, v16, 23, 1
; %bb.382:                              ;   in Loop: Header=BB4_129 Depth=3
	s_or_b32 exec_lo, exec_lo, s9
	s_delay_alu instid0(VALU_DEP_2) | instskip(NEXT) | instid1(VALU_DEP_2)
	v_lshrrev_b64 v[16:17], 20, v[16:17]
	v_cmp_gt_i32_e32 vcc_lo, 16, v19
	v_min_i32_e32 v44, 15, v19
	v_cmp_eq_u32_e64 s9, 0, v19
	s_delay_alu instid0(VALU_DEP_2) | instskip(SKIP_1) | instid1(VALU_DEP_2)
	v_dual_cndmask_b32 v17, 0, v17 :: v_dual_lshlrev_b32 v44, 3, v44
	v_cndmask_b32_e32 v16, 7, v16, vcc_lo
	v_and_b32_e32 v44, 0xf8, v44
	s_delay_alu instid0(VALU_DEP_2) | instskip(NEXT) | instid1(VALU_DEP_2)
	v_cmp_eq_u64_e32 vcc_lo, 0, v[16:17]
	v_and_or_b32 v16, v16, 7, v44
	s_and_b32 s9, s9, vcc_lo
	s_delay_alu instid0(VALU_DEP_1) | instid1(SALU_CYCLE_1)
	v_cndmask_b32_e64 v16, v16, 0, s9
	s_delay_alu instid0(VALU_DEP_1)
	v_or_b32_e32 v63, v16, v5
.LBB4_383:                              ;   in Loop: Header=BB4_129 Depth=3
	s_or_b32 exec_lo, exec_lo, s22
                                        ; implicit-def: $vgpr5
.LBB4_384:                              ;   in Loop: Header=BB4_129 Depth=3
	s_and_not1_saveexec_b32 s9, s21
; %bb.385:                              ;   in Loop: Header=BB4_129 Depth=3
	v_or_b32_e32 v63, 0x7e, v5
; %bb.386:                              ;   in Loop: Header=BB4_129 Depth=3
	s_or_b32 exec_lo, exec_lo, s9
                                        ; implicit-def: $vgpr5
.LBB4_387:                              ;   in Loop: Header=BB4_129 Depth=3
	s_and_not1_saveexec_b32 s9, s20
; %bb.388:                              ;   in Loop: Header=BB4_129 Depth=3
	v_or_b32_e32 v63, 0x7f, v5
; %bb.389:                              ;   in Loop: Header=BB4_129 Depth=3
	s_or_b32 exec_lo, exec_lo, s9
	v_lshrrev_b16 v17, 8, v18
	v_lshrrev_b16 v5, 8, v4
                                        ; implicit-def: $vgpr16
	s_delay_alu instid0(VALU_DEP_2) | instskip(SKIP_1) | instid1(SALU_CYCLE_1)
	v_cmp_ne_u16_e32 vcc_lo, 0, v17
	s_and_saveexec_b32 s9, s6
	s_xor_b32 s20, exec_lo, s9
	s_cbranch_execz .LBB4_407
; %bb.390:                              ;   in Loop: Header=BB4_129 Depth=3
	v_dual_mov_b32 v44, 0 :: v_dual_mov_b32 v19, 0
	s_and_saveexec_b32 s21, vcc_lo
	s_cbranch_execz .LBB4_398
; %bb.391:                              ;   in Loop: Header=BB4_129 Depth=3
	v_bfrev_b32_e32 v19, 1
	s_mov_b32 s22, exec_lo
	v_cmpx_ne_u16_e32 0x80, v17
	s_cbranch_execz .LBB4_397
; %bb.392:                              ;   in Loop: Header=BB4_129 Depth=3
	v_and_b32_e32 v16, 0xffff, v17
	v_mov_b32_e32 v19, 0x7f800001
	s_mov_b32 s23, exec_lo
	s_delay_alu instid0(VALU_DEP_2) | instskip(NEXT) | instid1(VALU_DEP_1)
	v_and_b32_e32 v45, 0x7f, v16
	v_cmpx_ne_u32_e32 0x7f, v45
	s_cbranch_execz .LBB4_396
; %bb.393:                              ;   in Loop: Header=BB4_129 Depth=3
	v_dual_mov_b32 v17, v55 :: v_dual_bitop2_b32 v16, 7, v16 bitop3:0x40
	v_lshrrev_b32_e32 v19, 3, v45
	s_mov_b32 s24, exec_lo
	v_cmpx_gt_u32_e32 8, v45
; %bb.394:                              ;   in Loop: Header=BB4_129 Depth=3
	s_delay_alu instid0(VALU_DEP_3) | instskip(NEXT) | instid1(VALU_DEP_1)
	v_clz_i32_u32_e32 v19, v16
	v_min_u32_e32 v19, 32, v19
	s_delay_alu instid0(VALU_DEP_1) | instskip(NEXT) | instid1(VALU_DEP_1)
	v_subrev_nc_u32_e32 v45, 28, v19
	v_lshlrev_b64_e32 v[16:17], v45, v[16:17]
	s_delay_alu instid0(VALU_DEP_1)
	v_dual_sub_nc_u32 v19, 29, v19 :: v_dual_bitop2_b32 v16, 7, v16 bitop3:0x40
; %bb.395:                              ;   in Loop: Header=BB4_129 Depth=3
	s_or_b32 exec_lo, exec_lo, s24
	s_delay_alu instid0(VALU_DEP_1) | instskip(NEXT) | instid1(VALU_DEP_2)
	v_dual_lshlrev_b32 v17, 16, v18 :: v_dual_lshlrev_b32 v16, 20, v16
	v_lshl_add_u32 v19, v19, 23, 0x3c000000
	s_delay_alu instid0(VALU_DEP_2) | instskip(NEXT) | instid1(VALU_DEP_1)
	v_and_b32_e32 v17, 0x80000000, v17
	v_or3_b32 v19, v16, v17, v19
.LBB4_396:                              ;   in Loop: Header=BB4_129 Depth=3
	s_or_b32 exec_lo, exec_lo, s23
.LBB4_397:                              ;   in Loop: Header=BB4_129 Depth=3
	s_delay_alu instid0(SALU_CYCLE_1)
	s_or_b32 exec_lo, exec_lo, s22
.LBB4_398:                              ;   in Loop: Header=BB4_129 Depth=3
	s_delay_alu instid0(SALU_CYCLE_1) | instskip(NEXT) | instid1(SALU_CYCLE_1)
	s_or_b32 exec_lo, exec_lo, s21
	s_mov_b32 s21, exec_lo
	v_cmpx_ne_u16_e32 0, v5
	s_cbranch_execz .LBB4_406
; %bb.399:                              ;   in Loop: Header=BB4_129 Depth=3
	v_bfrev_b32_e32 v44, 1
	s_mov_b32 s22, exec_lo
	v_cmpx_ne_u16_e32 0x80, v5
	s_cbranch_execz .LBB4_405
; %bb.400:                              ;   in Loop: Header=BB4_129 Depth=3
	v_and_b32_e32 v5, 0xffff, v5
	v_mov_b32_e32 v44, 0x7f800001
	s_mov_b32 s23, exec_lo
	s_delay_alu instid0(VALU_DEP_2) | instskip(NEXT) | instid1(VALU_DEP_1)
	v_and_b32_e32 v45, 0x7f, v5
	v_cmpx_ne_u32_e32 0x7f, v45
	s_cbranch_execz .LBB4_404
; %bb.401:                              ;   in Loop: Header=BB4_129 Depth=3
	v_dual_mov_b32 v17, v55 :: v_dual_bitop2_b32 v16, 7, v5 bitop3:0x40
	v_lshrrev_b32_e32 v5, 3, v45
	s_mov_b32 s24, exec_lo
	v_cmpx_gt_u32_e32 8, v45
; %bb.402:                              ;   in Loop: Header=BB4_129 Depth=3
	s_delay_alu instid0(VALU_DEP_3) | instskip(NEXT) | instid1(VALU_DEP_1)
	v_clz_i32_u32_e32 v5, v16
	v_min_u32_e32 v5, 32, v5
	s_delay_alu instid0(VALU_DEP_1) | instskip(NEXT) | instid1(VALU_DEP_1)
	v_subrev_nc_u32_e32 v44, 28, v5
	v_lshlrev_b64_e32 v[16:17], v44, v[16:17]
	s_delay_alu instid0(VALU_DEP_1)
	v_dual_sub_nc_u32 v5, 29, v5 :: v_dual_bitop2_b32 v16, 7, v16 bitop3:0x40
; %bb.403:                              ;   in Loop: Header=BB4_129 Depth=3
	s_or_b32 exec_lo, exec_lo, s24
	v_lshlrev_b32_e32 v17, 16, v4
	s_delay_alu instid0(VALU_DEP_2) | instskip(NEXT) | instid1(VALU_DEP_3)
	v_lshlrev_b32_e32 v16, 20, v16
	v_lshl_add_u32 v5, v5, 23, 0x3c000000
	s_delay_alu instid0(VALU_DEP_3) | instskip(NEXT) | instid1(VALU_DEP_1)
	v_and_b32_e32 v17, 0x80000000, v17
	v_or3_b32 v44, v16, v17, v5
.LBB4_404:                              ;   in Loop: Header=BB4_129 Depth=3
	s_or_b32 exec_lo, exec_lo, s23
.LBB4_405:                              ;   in Loop: Header=BB4_129 Depth=3
	s_delay_alu instid0(SALU_CYCLE_1)
	s_or_b32 exec_lo, exec_lo, s22
.LBB4_406:                              ;   in Loop: Header=BB4_129 Depth=3
	s_delay_alu instid0(SALU_CYCLE_1) | instskip(NEXT) | instid1(VALU_DEP_1)
	s_or_b32 exec_lo, exec_lo, s21
	v_dual_max_num_f32 v5, v44, v44 :: v_dual_max_num_f32 v16, v19, v19
                                        ; implicit-def: $vgpr17
	s_delay_alu instid0(VALU_DEP_1)
	v_max_num_f32_e32 v16, v16, v5
                                        ; implicit-def: $vgpr5
.LBB4_407:                              ;   in Loop: Header=BB4_129 Depth=3
	s_and_not1_saveexec_b32 s9, s20
	s_cbranch_execz .LBB4_425
; %bb.408:                              ;   in Loop: Header=BB4_129 Depth=3
	v_dual_mov_b32 v44, 0 :: v_dual_mov_b32 v19, 0
	s_and_saveexec_b32 s20, vcc_lo
	s_cbranch_execz .LBB4_416
; %bb.409:                              ;   in Loop: Header=BB4_129 Depth=3
	v_bfrev_b32_e32 v19, 1
	s_mov_b32 s21, exec_lo
	v_cmpx_ne_u16_e32 0x80, v17
	s_cbranch_execz .LBB4_415
; %bb.410:                              ;   in Loop: Header=BB4_129 Depth=3
	v_and_b32_e32 v16, 0xffff, v17
	v_mov_b32_e32 v19, 0x7f800001
	s_mov_b32 s22, exec_lo
	s_delay_alu instid0(VALU_DEP_2) | instskip(NEXT) | instid1(VALU_DEP_1)
	v_and_b32_e32 v45, 0x7f, v16
	v_cmpx_ne_u32_e32 0x7f, v45
	s_cbranch_execz .LBB4_414
; %bb.411:                              ;   in Loop: Header=BB4_129 Depth=3
	v_dual_mov_b32 v17, v55 :: v_dual_bitop2_b32 v16, 7, v16 bitop3:0x40
	v_lshrrev_b32_e32 v19, 3, v45
	s_mov_b32 s23, exec_lo
	v_cmpx_gt_u32_e32 8, v45
; %bb.412:                              ;   in Loop: Header=BB4_129 Depth=3
	s_delay_alu instid0(VALU_DEP_3) | instskip(NEXT) | instid1(VALU_DEP_1)
	v_clz_i32_u32_e32 v19, v16
	v_min_u32_e32 v19, 32, v19
	s_delay_alu instid0(VALU_DEP_1) | instskip(NEXT) | instid1(VALU_DEP_1)
	v_subrev_nc_u32_e32 v45, 28, v19
	v_lshlrev_b64_e32 v[16:17], v45, v[16:17]
	s_delay_alu instid0(VALU_DEP_1)
	v_dual_sub_nc_u32 v19, 29, v19 :: v_dual_bitop2_b32 v16, 7, v16 bitop3:0x40
; %bb.413:                              ;   in Loop: Header=BB4_129 Depth=3
	s_or_b32 exec_lo, exec_lo, s23
	s_delay_alu instid0(VALU_DEP_1) | instskip(NEXT) | instid1(VALU_DEP_2)
	v_dual_lshlrev_b32 v17, 16, v18 :: v_dual_lshlrev_b32 v16, 20, v16
	v_lshl_add_u32 v19, v19, 23, 0x3c000000
	s_delay_alu instid0(VALU_DEP_2) | instskip(NEXT) | instid1(VALU_DEP_1)
	v_and_b32_e32 v17, 0x80000000, v17
	v_or3_b32 v19, v16, v17, v19
.LBB4_414:                              ;   in Loop: Header=BB4_129 Depth=3
	s_or_b32 exec_lo, exec_lo, s22
.LBB4_415:                              ;   in Loop: Header=BB4_129 Depth=3
	s_delay_alu instid0(SALU_CYCLE_1)
	s_or_b32 exec_lo, exec_lo, s21
.LBB4_416:                              ;   in Loop: Header=BB4_129 Depth=3
	s_delay_alu instid0(SALU_CYCLE_1) | instskip(NEXT) | instid1(SALU_CYCLE_1)
	s_or_b32 exec_lo, exec_lo, s20
	s_mov_b32 s20, exec_lo
	v_cmpx_ne_u16_e32 0, v5
	s_cbranch_execz .LBB4_424
; %bb.417:                              ;   in Loop: Header=BB4_129 Depth=3
	v_bfrev_b32_e32 v44, 1
	s_mov_b32 s21, exec_lo
	v_cmpx_ne_u16_e32 0x80, v5
	s_cbranch_execz .LBB4_423
; %bb.418:                              ;   in Loop: Header=BB4_129 Depth=3
	v_and_b32_e32 v5, 0xffff, v5
	v_mov_b32_e32 v44, 0x7f800001
	s_mov_b32 s22, exec_lo
	s_delay_alu instid0(VALU_DEP_2) | instskip(NEXT) | instid1(VALU_DEP_1)
	v_and_b32_e32 v45, 0x7f, v5
	v_cmpx_ne_u32_e32 0x7f, v45
	s_cbranch_execz .LBB4_422
; %bb.419:                              ;   in Loop: Header=BB4_129 Depth=3
	v_dual_mov_b32 v17, v55 :: v_dual_bitop2_b32 v16, 7, v5 bitop3:0x40
	v_lshrrev_b32_e32 v5, 3, v45
	s_mov_b32 s23, exec_lo
	v_cmpx_gt_u32_e32 8, v45
; %bb.420:                              ;   in Loop: Header=BB4_129 Depth=3
	s_delay_alu instid0(VALU_DEP_3) | instskip(NEXT) | instid1(VALU_DEP_1)
	v_clz_i32_u32_e32 v5, v16
	v_min_u32_e32 v5, 32, v5
	s_delay_alu instid0(VALU_DEP_1) | instskip(NEXT) | instid1(VALU_DEP_1)
	v_subrev_nc_u32_e32 v44, 28, v5
	v_lshlrev_b64_e32 v[16:17], v44, v[16:17]
	s_delay_alu instid0(VALU_DEP_1)
	v_dual_sub_nc_u32 v5, 29, v5 :: v_dual_bitop2_b32 v16, 7, v16 bitop3:0x40
; %bb.421:                              ;   in Loop: Header=BB4_129 Depth=3
	s_or_b32 exec_lo, exec_lo, s23
	v_lshlrev_b32_e32 v17, 16, v4
	s_delay_alu instid0(VALU_DEP_2) | instskip(NEXT) | instid1(VALU_DEP_3)
	v_lshlrev_b32_e32 v16, 20, v16
	v_lshl_add_u32 v5, v5, 23, 0x3c000000
	s_delay_alu instid0(VALU_DEP_3) | instskip(NEXT) | instid1(VALU_DEP_1)
	v_and_b32_e32 v17, 0x80000000, v17
	v_or3_b32 v44, v16, v17, v5
.LBB4_422:                              ;   in Loop: Header=BB4_129 Depth=3
	s_or_b32 exec_lo, exec_lo, s22
.LBB4_423:                              ;   in Loop: Header=BB4_129 Depth=3
	s_delay_alu instid0(SALU_CYCLE_1)
	s_or_b32 exec_lo, exec_lo, s21
.LBB4_424:                              ;   in Loop: Header=BB4_129 Depth=3
	s_delay_alu instid0(SALU_CYCLE_1) | instskip(NEXT) | instid1(VALU_DEP_1)
	s_or_b32 exec_lo, exec_lo, s20
	v_dual_max_num_f32 v5, v44, v44 :: v_dual_max_num_f32 v16, v19, v19
	s_delay_alu instid0(VALU_DEP_1)
	v_min_num_f32_e32 v16, v16, v5
.LBB4_425:                              ;   in Loop: Header=BB4_129 Depth=3
	s_or_b32 exec_lo, exec_lo, s9
	s_delay_alu instid0(VALU_DEP_1) | instskip(SKIP_2) | instid1(VALU_DEP_1)
	v_and_b32_e32 v44, 0x7f800000, v16
	v_dual_mov_b32 v45, v55 :: v_dual_lshrrev_b32 v5, 24, v16
                                        ; implicit-def: $vgpr72
	s_mov_b32 s9, exec_lo
	v_cmpx_ne_u64_e32 0x7f800000, v[44:45]
	s_xor_b32 s20, exec_lo, s9
	s_cbranch_execz .LBB4_439
; %bb.426:                              ;   in Loop: Header=BB4_129 Depth=3
	v_and_b32_e32 v44, 0x7fffffff, v16
	v_mov_b32_e32 v45, v55
	v_and_b32_e32 v5, 0x80, v5
                                        ; implicit-def: $vgpr72
	s_mov_b32 s9, exec_lo
	s_delay_alu instid0(VALU_DEP_2)
	v_cmpx_gt_u64_e32 0x43e00001, v[44:45]
	s_xor_b32 s21, exec_lo, s9
	s_cbranch_execz .LBB4_436
; %bb.427:                              ;   in Loop: Header=BB4_129 Depth=3
	v_mov_b32_e32 v72, 0
	s_mov_b32 s22, exec_lo
	v_cmpx_ne_u32_e32 0, v16
	s_cbranch_execz .LBB4_435
; %bb.428:                              ;   in Loop: Header=BB4_129 Depth=3
	v_bfe_u32 v19, v16, 23, 8
	v_and_b32_e32 v44, 0x7fffff, v16
	s_mov_b32 s23, exec_lo
	s_delay_alu instid0(VALU_DEP_2) | instskip(NEXT) | instid1(VALU_DEP_2)
	v_cmp_gt_u32_e32 vcc_lo, 0x7a, v19
	v_or_b32_e32 v45, 0x800000, v44
	v_sub_nc_u32_e32 v17, 0x79, v19
	s_delay_alu instid0(VALU_DEP_1) | instskip(SKIP_1) | instid1(VALU_DEP_2)
	v_cndmask_b32_e32 v17, 0, v17, vcc_lo
	v_cmp_eq_u32_e32 vcc_lo, 0, v19
	v_cndmask_b32_e64 v72, v17, 0x78, vcc_lo
	v_dual_cndmask_b32 v44, v45, v44 :: v_dual_mov_b32 v45, v55
	s_delay_alu instid0(VALU_DEP_2) | instskip(NEXT) | instid1(VALU_DEP_1)
	v_dual_add_nc_u32 v73, 19, v72 :: v_dual_add_nc_u32 v16, 20, v72
	v_lshlrev_b64_e64 v[74:75], v73, 1
	s_delay_alu instid0(VALU_DEP_2) | instskip(NEXT) | instid1(VALU_DEP_1)
	v_lshlrev_b64_e64 v[16:17], v16, -1
	v_bfi_b32 v77, v17, 0, 0
	s_delay_alu instid0(VALU_DEP_2) | instskip(SKIP_1) | instid1(VALU_DEP_1)
	v_bfi_b32 v76, v16, 0, v44
	v_lshrrev_b64 v[16:17], v72, v[44:45]
	v_mov_b64_e32 v[44:45], v[16:17]
	s_delay_alu instid0(VALU_DEP_3)
	v_cmpx_eq_u64_e64 v[76:77], v[74:75]
; %bb.429:                              ;   in Loop: Header=BB4_129 Depth=3
	v_bfe_u32 v44, v16, 20, 1
	v_mov_b32_e32 v45, v55
	s_delay_alu instid0(VALU_DEP_1) | instskip(NEXT) | instid1(VALU_DEP_1)
	v_add_nc_u64_e32 v[44:45], v[16:17], v[44:45]
	v_add_nc_u64_e32 v[44:45], -1, v[44:45]
; %bb.430:                              ;   in Loop: Header=BB4_129 Depth=3
	s_or_b32 exec_lo, exec_lo, s23
	v_add_nc_u32_e32 v17, 0xffffff81, v19
	v_lshrrev_b32_e32 v19, 23, v16
	s_mov_b32 s9, exec_lo
	s_delay_alu instid0(VALU_DEP_2) | instskip(NEXT) | instid1(VALU_DEP_1)
	v_cndmask_b32_e64 v17, v17, 0xffffff82, vcc_lo
	v_add3_u32 v45, v72, v17, v19
	v_and_b32_e32 v17, 0xfffff, v44
                                        ; implicit-def: $vgpr19
	s_delay_alu instid0(VALU_DEP_1) | instskip(SKIP_1) | instid1(VALU_DEP_2)
	v_dual_add_nc_u32 v44, 6, v45 :: v_dual_add_nc_u32 v16, v17, v16
	v_mov_b32_e32 v17, v55
	v_cmpx_ne_u32_e32 0, v44
	s_xor_b32 s9, exec_lo, s9
; %bb.431:                              ;   in Loop: Header=BB4_129 Depth=3
	s_delay_alu instid0(VALU_DEP_2) | instskip(SKIP_1) | instid1(VALU_DEP_1)
	v_cmp_lt_u64_e32 vcc_lo, 0xffffff, v[16:17]
	v_add_nc_u32_e32 v19, 7, v45
	v_cndmask_b32_e32 v19, v44, v19, vcc_lo
	v_cndmask_b32_e64 v44, 0, 1, vcc_lo
	s_delay_alu instid0(VALU_DEP_1)
	v_lshrrev_b64 v[16:17], v44, v[16:17]
; %bb.432:                              ;   in Loop: Header=BB4_129 Depth=3
	s_and_not1_saveexec_b32 s9, s9
; %bb.433:                              ;   in Loop: Header=BB4_129 Depth=3
	s_delay_alu instid0(VALU_DEP_1)
	v_bfe_u32 v19, v16, 23, 1
; %bb.434:                              ;   in Loop: Header=BB4_129 Depth=3
	s_or_b32 exec_lo, exec_lo, s9
	s_delay_alu instid0(VALU_DEP_2) | instskip(NEXT) | instid1(VALU_DEP_2)
	v_lshrrev_b64 v[16:17], 20, v[16:17]
	v_cmp_gt_i32_e32 vcc_lo, 16, v19
	v_min_i32_e32 v44, 15, v19
	v_cmp_eq_u32_e64 s9, 0, v19
	s_delay_alu instid0(VALU_DEP_2) | instskip(SKIP_1) | instid1(VALU_DEP_2)
	v_dual_cndmask_b32 v17, 0, v17 :: v_dual_lshlrev_b32 v44, 3, v44
	v_cndmask_b32_e32 v16, 7, v16, vcc_lo
	v_and_b32_e32 v44, 0xf8, v44
	s_delay_alu instid0(VALU_DEP_2) | instskip(NEXT) | instid1(VALU_DEP_2)
	v_cmp_eq_u64_e32 vcc_lo, 0, v[16:17]
	v_and_or_b32 v16, v16, 7, v44
	s_and_b32 s9, s9, vcc_lo
	s_delay_alu instid0(VALU_DEP_1) | instid1(SALU_CYCLE_1)
	v_cndmask_b32_e64 v16, v16, 0, s9
	s_delay_alu instid0(VALU_DEP_1)
	v_or_b32_e32 v72, v16, v5
.LBB4_435:                              ;   in Loop: Header=BB4_129 Depth=3
	s_or_b32 exec_lo, exec_lo, s22
                                        ; implicit-def: $vgpr5
.LBB4_436:                              ;   in Loop: Header=BB4_129 Depth=3
	s_and_not1_saveexec_b32 s9, s21
; %bb.437:                              ;   in Loop: Header=BB4_129 Depth=3
	v_or_b32_e32 v72, 0x7e, v5
; %bb.438:                              ;   in Loop: Header=BB4_129 Depth=3
	s_or_b32 exec_lo, exec_lo, s9
                                        ; implicit-def: $vgpr5
.LBB4_439:                              ;   in Loop: Header=BB4_129 Depth=3
	s_and_not1_saveexec_b32 s9, s20
; %bb.440:                              ;   in Loop: Header=BB4_129 Depth=3
	v_or_b32_e32 v72, 0x7f, v5
; %bb.441:                              ;   in Loop: Header=BB4_129 Depth=3
	s_or_b32 exec_lo, exec_lo, s9
	v_dual_lshrrev_b32 v19, 16, v18 :: v_dual_lshrrev_b32 v5, 16, v4
                                        ; implicit-def: $vgpr16
	s_delay_alu instid0(VALU_DEP_1) | instskip(NEXT) | instid1(VALU_DEP_1)
	v_and_b32_e32 v17, 0xff, v19
	v_cmp_ne_u16_e32 vcc_lo, 0, v17
	s_and_saveexec_b32 s9, s6
	s_delay_alu instid0(SALU_CYCLE_1)
	s_xor_b32 s20, exec_lo, s9
	s_cbranch_execz .LBB4_459
; %bb.442:                              ;   in Loop: Header=BB4_129 Depth=3
	v_dual_mov_b32 v45, 0 :: v_dual_mov_b32 v44, 0
	s_and_saveexec_b32 s21, vcc_lo
	s_cbranch_execz .LBB4_450
; %bb.443:                              ;   in Loop: Header=BB4_129 Depth=3
	v_bfrev_b32_e32 v44, 1
	s_mov_b32 s22, exec_lo
	v_cmpx_ne_u16_e32 0x80, v17
	s_cbranch_execz .LBB4_449
; %bb.444:                              ;   in Loop: Header=BB4_129 Depth=3
	v_bfe_u32 v73, v18, 16, 7
	v_mov_b32_e32 v44, 0x7f800001
	s_mov_b32 s23, exec_lo
	s_delay_alu instid0(VALU_DEP_2)
	v_cmpx_ne_u32_e32 0x7f, v73
	s_cbranch_execz .LBB4_448
; %bb.445:                              ;   in Loop: Header=BB4_129 Depth=3
	v_dual_mov_b32 v17, v55 :: v_dual_bitop2_b32 v16, 7, v19 bitop3:0x40
	v_lshrrev_b32_e32 v44, 3, v73
	s_mov_b32 s24, exec_lo
	v_cmpx_gt_u32_e32 8, v73
; %bb.446:                              ;   in Loop: Header=BB4_129 Depth=3
	s_delay_alu instid0(VALU_DEP_3) | instskip(NEXT) | instid1(VALU_DEP_1)
	v_clz_i32_u32_e32 v44, v16
	v_min_u32_e32 v44, 32, v44
	s_delay_alu instid0(VALU_DEP_1) | instskip(SKIP_1) | instid1(VALU_DEP_2)
	v_subrev_nc_u32_e32 v73, 28, v44
	v_sub_nc_u32_e32 v44, 29, v44
	v_lshlrev_b64_e32 v[16:17], v73, v[16:17]
	s_delay_alu instid0(VALU_DEP_1)
	v_and_b32_e32 v16, 7, v16
; %bb.447:                              ;   in Loop: Header=BB4_129 Depth=3
	s_or_b32 exec_lo, exec_lo, s24
	s_delay_alu instid0(VALU_DEP_1) | instskip(SKIP_1) | instid1(VALU_DEP_2)
	v_dual_lshlrev_b32 v17, 24, v19 :: v_dual_lshlrev_b32 v16, 20, v16
	v_lshl_add_u32 v19, v44, 23, 0x3c000000
	v_and_b32_e32 v17, 0x80000000, v17
	s_delay_alu instid0(VALU_DEP_1)
	v_or3_b32 v44, v16, v17, v19
.LBB4_448:                              ;   in Loop: Header=BB4_129 Depth=3
	s_or_b32 exec_lo, exec_lo, s23
.LBB4_449:                              ;   in Loop: Header=BB4_129 Depth=3
	s_delay_alu instid0(SALU_CYCLE_1)
	s_or_b32 exec_lo, exec_lo, s22
.LBB4_450:                              ;   in Loop: Header=BB4_129 Depth=3
	s_delay_alu instid0(SALU_CYCLE_1) | instskip(SKIP_2) | instid1(VALU_DEP_1)
	s_or_b32 exec_lo, exec_lo, s21
	v_and_b32_e32 v16, 0xff, v5
	s_mov_b32 s21, exec_lo
	v_cmpx_ne_u16_e32 0, v16
	s_cbranch_execz .LBB4_458
; %bb.451:                              ;   in Loop: Header=BB4_129 Depth=3
	v_bfrev_b32_e32 v45, 1
	s_mov_b32 s22, exec_lo
	v_cmpx_ne_u16_e32 0x80, v16
	s_cbranch_execz .LBB4_457
; %bb.452:                              ;   in Loop: Header=BB4_129 Depth=3
	v_bfe_u32 v73, v4, 16, 7
	v_mov_b32_e32 v45, 0x7f800001
	s_mov_b32 s23, exec_lo
	s_delay_alu instid0(VALU_DEP_2)
	v_cmpx_ne_u32_e32 0x7f, v73
	s_cbranch_execz .LBB4_456
; %bb.453:                              ;   in Loop: Header=BB4_129 Depth=3
	v_dual_mov_b32 v17, v55 :: v_dual_bitop2_b32 v16, 7, v5 bitop3:0x40
	v_lshrrev_b32_e32 v19, 3, v73
	s_mov_b32 s24, exec_lo
	v_cmpx_gt_u32_e32 8, v73
; %bb.454:                              ;   in Loop: Header=BB4_129 Depth=3
	s_delay_alu instid0(VALU_DEP_3) | instskip(NEXT) | instid1(VALU_DEP_1)
	v_clz_i32_u32_e32 v19, v16
	v_min_u32_e32 v19, 32, v19
	s_delay_alu instid0(VALU_DEP_1) | instskip(NEXT) | instid1(VALU_DEP_1)
	v_subrev_nc_u32_e32 v45, 28, v19
	v_lshlrev_b64_e32 v[16:17], v45, v[16:17]
	s_delay_alu instid0(VALU_DEP_1)
	v_dual_sub_nc_u32 v19, 29, v19 :: v_dual_bitop2_b32 v16, 7, v16 bitop3:0x40
; %bb.455:                              ;   in Loop: Header=BB4_129 Depth=3
	s_or_b32 exec_lo, exec_lo, s24
	s_delay_alu instid0(VALU_DEP_1) | instskip(NEXT) | instid1(VALU_DEP_2)
	v_dual_lshlrev_b32 v5, 24, v5 :: v_dual_lshlrev_b32 v16, 20, v16
	v_lshl_add_u32 v17, v19, 23, 0x3c000000
	s_delay_alu instid0(VALU_DEP_2) | instskip(NEXT) | instid1(VALU_DEP_1)
	v_and_b32_e32 v5, 0x80000000, v5
	v_or3_b32 v45, v16, v5, v17
.LBB4_456:                              ;   in Loop: Header=BB4_129 Depth=3
	s_or_b32 exec_lo, exec_lo, s23
.LBB4_457:                              ;   in Loop: Header=BB4_129 Depth=3
	s_delay_alu instid0(SALU_CYCLE_1)
	s_or_b32 exec_lo, exec_lo, s22
.LBB4_458:                              ;   in Loop: Header=BB4_129 Depth=3
	s_delay_alu instid0(SALU_CYCLE_1) | instskip(NEXT) | instid1(VALU_DEP_1)
	s_or_b32 exec_lo, exec_lo, s21
	v_dual_max_num_f32 v5, v45, v45 :: v_dual_max_num_f32 v16, v44, v44
                                        ; implicit-def: $vgpr17
                                        ; implicit-def: $vgpr19
	s_delay_alu instid0(VALU_DEP_1)
	v_max_num_f32_e32 v16, v16, v5
                                        ; implicit-def: $vgpr5
.LBB4_459:                              ;   in Loop: Header=BB4_129 Depth=3
	s_and_not1_saveexec_b32 s9, s20
	s_cbranch_execz .LBB4_477
; %bb.460:                              ;   in Loop: Header=BB4_129 Depth=3
	v_dual_mov_b32 v45, 0 :: v_dual_mov_b32 v44, 0
	s_and_saveexec_b32 s20, vcc_lo
	s_cbranch_execz .LBB4_468
; %bb.461:                              ;   in Loop: Header=BB4_129 Depth=3
	v_bfrev_b32_e32 v44, 1
	s_mov_b32 s21, exec_lo
	v_cmpx_ne_u16_e32 0x80, v17
	s_cbranch_execz .LBB4_467
; %bb.462:                              ;   in Loop: Header=BB4_129 Depth=3
	v_bfe_u32 v73, v18, 16, 7
	v_mov_b32_e32 v44, 0x7f800001
	s_mov_b32 s22, exec_lo
	s_delay_alu instid0(VALU_DEP_2)
	v_cmpx_ne_u32_e32 0x7f, v73
	s_cbranch_execz .LBB4_466
; %bb.463:                              ;   in Loop: Header=BB4_129 Depth=3
	v_dual_mov_b32 v17, v55 :: v_dual_bitop2_b32 v16, 7, v19 bitop3:0x40
	v_lshrrev_b32_e32 v44, 3, v73
	s_mov_b32 s23, exec_lo
	v_cmpx_gt_u32_e32 8, v73
; %bb.464:                              ;   in Loop: Header=BB4_129 Depth=3
	s_delay_alu instid0(VALU_DEP_3) | instskip(NEXT) | instid1(VALU_DEP_1)
	v_clz_i32_u32_e32 v44, v16
	v_min_u32_e32 v44, 32, v44
	s_delay_alu instid0(VALU_DEP_1) | instskip(SKIP_1) | instid1(VALU_DEP_2)
	v_subrev_nc_u32_e32 v73, 28, v44
	v_sub_nc_u32_e32 v44, 29, v44
	v_lshlrev_b64_e32 v[16:17], v73, v[16:17]
	s_delay_alu instid0(VALU_DEP_1)
	v_and_b32_e32 v16, 7, v16
; %bb.465:                              ;   in Loop: Header=BB4_129 Depth=3
	s_or_b32 exec_lo, exec_lo, s23
	s_delay_alu instid0(VALU_DEP_1) | instskip(SKIP_1) | instid1(VALU_DEP_2)
	v_dual_lshlrev_b32 v17, 24, v19 :: v_dual_lshlrev_b32 v16, 20, v16
	v_lshl_add_u32 v19, v44, 23, 0x3c000000
	v_and_b32_e32 v17, 0x80000000, v17
	s_delay_alu instid0(VALU_DEP_1)
	v_or3_b32 v44, v16, v17, v19
.LBB4_466:                              ;   in Loop: Header=BB4_129 Depth=3
	s_or_b32 exec_lo, exec_lo, s22
.LBB4_467:                              ;   in Loop: Header=BB4_129 Depth=3
	s_delay_alu instid0(SALU_CYCLE_1)
	s_or_b32 exec_lo, exec_lo, s21
.LBB4_468:                              ;   in Loop: Header=BB4_129 Depth=3
	s_delay_alu instid0(SALU_CYCLE_1) | instskip(SKIP_2) | instid1(VALU_DEP_1)
	s_or_b32 exec_lo, exec_lo, s20
	v_and_b32_e32 v16, 0xff, v5
	s_mov_b32 s20, exec_lo
	v_cmpx_ne_u16_e32 0, v16
	s_cbranch_execz .LBB4_476
; %bb.469:                              ;   in Loop: Header=BB4_129 Depth=3
	v_bfrev_b32_e32 v45, 1
	s_mov_b32 s21, exec_lo
	v_cmpx_ne_u16_e32 0x80, v16
	s_cbranch_execz .LBB4_475
; %bb.470:                              ;   in Loop: Header=BB4_129 Depth=3
	v_bfe_u32 v73, v4, 16, 7
	v_mov_b32_e32 v45, 0x7f800001
	s_mov_b32 s22, exec_lo
	s_delay_alu instid0(VALU_DEP_2)
	v_cmpx_ne_u32_e32 0x7f, v73
	s_cbranch_execz .LBB4_474
; %bb.471:                              ;   in Loop: Header=BB4_129 Depth=3
	v_dual_mov_b32 v17, v55 :: v_dual_bitop2_b32 v16, 7, v5 bitop3:0x40
	v_lshrrev_b32_e32 v19, 3, v73
	s_mov_b32 s23, exec_lo
	v_cmpx_gt_u32_e32 8, v73
; %bb.472:                              ;   in Loop: Header=BB4_129 Depth=3
	s_delay_alu instid0(VALU_DEP_3) | instskip(NEXT) | instid1(VALU_DEP_1)
	v_clz_i32_u32_e32 v19, v16
	v_min_u32_e32 v19, 32, v19
	s_delay_alu instid0(VALU_DEP_1) | instskip(NEXT) | instid1(VALU_DEP_1)
	v_subrev_nc_u32_e32 v45, 28, v19
	v_lshlrev_b64_e32 v[16:17], v45, v[16:17]
	s_delay_alu instid0(VALU_DEP_1)
	v_dual_sub_nc_u32 v19, 29, v19 :: v_dual_bitop2_b32 v16, 7, v16 bitop3:0x40
; %bb.473:                              ;   in Loop: Header=BB4_129 Depth=3
	s_or_b32 exec_lo, exec_lo, s23
	s_delay_alu instid0(VALU_DEP_1) | instskip(NEXT) | instid1(VALU_DEP_2)
	v_dual_lshlrev_b32 v5, 24, v5 :: v_dual_lshlrev_b32 v16, 20, v16
	v_lshl_add_u32 v17, v19, 23, 0x3c000000
	s_delay_alu instid0(VALU_DEP_2) | instskip(NEXT) | instid1(VALU_DEP_1)
	v_and_b32_e32 v5, 0x80000000, v5
	v_or3_b32 v45, v16, v5, v17
.LBB4_474:                              ;   in Loop: Header=BB4_129 Depth=3
	s_or_b32 exec_lo, exec_lo, s22
.LBB4_475:                              ;   in Loop: Header=BB4_129 Depth=3
	s_delay_alu instid0(SALU_CYCLE_1)
	s_or_b32 exec_lo, exec_lo, s21
.LBB4_476:                              ;   in Loop: Header=BB4_129 Depth=3
	s_delay_alu instid0(SALU_CYCLE_1) | instskip(NEXT) | instid1(VALU_DEP_1)
	s_or_b32 exec_lo, exec_lo, s20
	v_dual_max_num_f32 v5, v45, v45 :: v_dual_max_num_f32 v16, v44, v44
	s_delay_alu instid0(VALU_DEP_1)
	v_min_num_f32_e32 v16, v16, v5
.LBB4_477:                              ;   in Loop: Header=BB4_129 Depth=3
	s_or_b32 exec_lo, exec_lo, s9
	s_delay_alu instid0(VALU_DEP_1) | instskip(SKIP_1) | instid1(VALU_DEP_1)
	v_and_b32_e32 v44, 0x7f800000, v16
	v_dual_mov_b32 v45, v55 :: v_dual_lshrrev_b32 v5, 24, v16
	v_cmp_ne_u64_e32 vcc_lo, 0x7f800000, v[44:45]
                                        ; implicit-def: $vgpr44
	s_and_saveexec_b32 s9, vcc_lo
	s_delay_alu instid0(SALU_CYCLE_1)
	s_xor_b32 s20, exec_lo, s9
	s_cbranch_execz .LBB4_491
; %bb.478:                              ;   in Loop: Header=BB4_129 Depth=3
	v_and_b32_e32 v44, 0x7fffffff, v16
	v_mov_b32_e32 v45, v55
	v_and_b32_e32 v5, 0x80, v5
	s_delay_alu instid0(VALU_DEP_2) | instskip(SKIP_1) | instid1(SALU_CYCLE_1)
	v_cmp_gt_u64_e32 vcc_lo, 0x43e00001, v[44:45]
                                        ; implicit-def: $vgpr44
	s_and_saveexec_b32 s9, vcc_lo
	s_xor_b32 s21, exec_lo, s9
	s_cbranch_execz .LBB4_488
; %bb.479:                              ;   in Loop: Header=BB4_129 Depth=3
	v_mov_b32_e32 v44, 0
	s_mov_b32 s22, exec_lo
	v_cmpx_ne_u32_e32 0, v16
	s_cbranch_execz .LBB4_487
; %bb.480:                              ;   in Loop: Header=BB4_129 Depth=3
	v_bfe_u32 v19, v16, 23, 8
	v_and_b32_e32 v44, 0x7fffff, v16
	s_mov_b32 s23, exec_lo
	s_delay_alu instid0(VALU_DEP_2) | instskip(NEXT) | instid1(VALU_DEP_2)
	v_cmp_gt_u32_e32 vcc_lo, 0x7a, v19
	v_or_b32_e32 v45, 0x800000, v44
	v_sub_nc_u32_e32 v17, 0x79, v19
	s_delay_alu instid0(VALU_DEP_1) | instskip(SKIP_1) | instid1(VALU_DEP_4)
	v_cndmask_b32_e32 v17, 0, v17, vcc_lo
	v_cmp_eq_u32_e32 vcc_lo, 0, v19
	v_dual_cndmask_b32 v44, v45, v44 :: v_dual_mov_b32 v45, v55
	s_delay_alu instid0(VALU_DEP_3) | instskip(NEXT) | instid1(VALU_DEP_1)
	v_cndmask_b32_e64 v73, v17, 0x78, vcc_lo
	v_dual_add_nc_u32 v16, 20, v73 :: v_dual_add_nc_u32 v74, 19, v73
	s_delay_alu instid0(VALU_DEP_1) | instskip(NEXT) | instid1(VALU_DEP_2)
	v_lshlrev_b64_e64 v[16:17], v16, -1
	v_lshlrev_b64_e64 v[74:75], v74, 1
	s_delay_alu instid0(VALU_DEP_2) | instskip(NEXT) | instid1(VALU_DEP_3)
	v_bfi_b32 v77, v17, 0, 0
	v_bfi_b32 v76, v16, 0, v44
	v_lshrrev_b64 v[16:17], v73, v[44:45]
	s_delay_alu instid0(VALU_DEP_1) | instskip(NEXT) | instid1(VALU_DEP_3)
	v_mov_b64_e32 v[44:45], v[16:17]
	v_cmpx_eq_u64_e64 v[76:77], v[74:75]
; %bb.481:                              ;   in Loop: Header=BB4_129 Depth=3
	v_bfe_u32 v44, v16, 20, 1
	v_mov_b32_e32 v45, v55
	s_delay_alu instid0(VALU_DEP_1) | instskip(NEXT) | instid1(VALU_DEP_1)
	v_add_nc_u64_e32 v[44:45], v[16:17], v[44:45]
	v_add_nc_u64_e32 v[44:45], -1, v[44:45]
; %bb.482:                              ;   in Loop: Header=BB4_129 Depth=3
	s_or_b32 exec_lo, exec_lo, s23
	v_add_nc_u32_e32 v17, 0xffffff81, v19
	v_lshrrev_b32_e32 v19, 23, v16
	s_mov_b32 s9, exec_lo
	s_delay_alu instid0(VALU_DEP_2) | instskip(NEXT) | instid1(VALU_DEP_1)
	v_cndmask_b32_e64 v17, v17, 0xffffff82, vcc_lo
	v_add3_u32 v45, v73, v17, v19
	v_and_b32_e32 v17, 0xfffff, v44
                                        ; implicit-def: $vgpr19
	s_delay_alu instid0(VALU_DEP_1) | instskip(SKIP_1) | instid1(VALU_DEP_2)
	v_dual_add_nc_u32 v44, 6, v45 :: v_dual_add_nc_u32 v16, v17, v16
	v_mov_b32_e32 v17, v55
	v_cmpx_ne_u32_e32 0, v44
	s_xor_b32 s9, exec_lo, s9
; %bb.483:                              ;   in Loop: Header=BB4_129 Depth=3
	s_delay_alu instid0(VALU_DEP_2) | instskip(SKIP_1) | instid1(VALU_DEP_1)
	v_cmp_lt_u64_e32 vcc_lo, 0xffffff, v[16:17]
	v_add_nc_u32_e32 v19, 7, v45
	v_cndmask_b32_e32 v19, v44, v19, vcc_lo
	v_cndmask_b32_e64 v44, 0, 1, vcc_lo
	s_delay_alu instid0(VALU_DEP_1)
	v_lshrrev_b64 v[16:17], v44, v[16:17]
; %bb.484:                              ;   in Loop: Header=BB4_129 Depth=3
	s_and_not1_saveexec_b32 s9, s9
; %bb.485:                              ;   in Loop: Header=BB4_129 Depth=3
	s_delay_alu instid0(VALU_DEP_1)
	v_bfe_u32 v19, v16, 23, 1
; %bb.486:                              ;   in Loop: Header=BB4_129 Depth=3
	s_or_b32 exec_lo, exec_lo, s9
	s_delay_alu instid0(VALU_DEP_2) | instskip(NEXT) | instid1(VALU_DEP_2)
	v_lshrrev_b64 v[16:17], 20, v[16:17]
	v_cmp_gt_i32_e32 vcc_lo, 16, v19
	v_min_i32_e32 v44, 15, v19
	v_cmp_eq_u32_e64 s9, 0, v19
	s_delay_alu instid0(VALU_DEP_2) | instskip(SKIP_1) | instid1(VALU_DEP_2)
	v_dual_cndmask_b32 v17, 0, v17 :: v_dual_lshlrev_b32 v44, 3, v44
	v_cndmask_b32_e32 v16, 7, v16, vcc_lo
	v_and_b32_e32 v44, 0xf8, v44
	s_delay_alu instid0(VALU_DEP_2) | instskip(NEXT) | instid1(VALU_DEP_2)
	v_cmp_eq_u64_e32 vcc_lo, 0, v[16:17]
	v_and_or_b32 v16, v16, 7, v44
	s_and_b32 s9, s9, vcc_lo
	s_delay_alu instid0(VALU_DEP_1) | instid1(SALU_CYCLE_1)
	v_cndmask_b32_e64 v16, v16, 0, s9
	s_delay_alu instid0(VALU_DEP_1)
	v_or_b32_e32 v44, v16, v5
.LBB4_487:                              ;   in Loop: Header=BB4_129 Depth=3
	s_or_b32 exec_lo, exec_lo, s22
                                        ; implicit-def: $vgpr5
.LBB4_488:                              ;   in Loop: Header=BB4_129 Depth=3
	s_and_not1_saveexec_b32 s9, s21
; %bb.489:                              ;   in Loop: Header=BB4_129 Depth=3
	v_or_b32_e32 v44, 0x7e, v5
; %bb.490:                              ;   in Loop: Header=BB4_129 Depth=3
	s_or_b32 exec_lo, exec_lo, s9
                                        ; implicit-def: $vgpr5
.LBB4_491:                              ;   in Loop: Header=BB4_129 Depth=3
	s_and_not1_saveexec_b32 s9, s20
; %bb.492:                              ;   in Loop: Header=BB4_129 Depth=3
	v_or_b32_e32 v44, 0x7f, v5
; %bb.493:                              ;   in Loop: Header=BB4_129 Depth=3
	s_or_b32 exec_lo, exec_lo, s9
	v_and_b32_e32 v16, 0xff000000, v18
	v_dual_mov_b32 v17, v55 :: v_dual_lshrrev_b32 v5, 24, v18
	v_lshrrev_b32_e32 v45, 24, v4
	s_delay_alu instid0(VALU_DEP_2) | instskip(SKIP_1) | instid1(SALU_CYCLE_1)
	v_cmp_ne_u64_e32 vcc_lo, 0, v[16:17]
                                        ; implicit-def: $vgpr16
	s_and_saveexec_b32 s9, s6
	s_xor_b32 s20, exec_lo, s9
	s_cbranch_execz .LBB4_511
; %bb.494:                              ;   in Loop: Header=BB4_129 Depth=3
	v_dual_mov_b32 v19, 0 :: v_dual_mov_b32 v16, 0
	s_and_saveexec_b32 s21, vcc_lo
	s_cbranch_execz .LBB4_502
; %bb.495:                              ;   in Loop: Header=BB4_129 Depth=3
	v_bfrev_b32_e32 v16, 1
	s_mov_b32 s22, exec_lo
	v_cmpx_ne_u32_e32 0x80, v5
	s_cbranch_execz .LBB4_501
; %bb.496:                              ;   in Loop: Header=BB4_129 Depth=3
	v_bfe_u32 v73, v18, 24, 7
	v_mov_b32_e32 v16, 0x7f800001
	s_mov_b32 s23, exec_lo
	s_delay_alu instid0(VALU_DEP_2)
	v_cmpx_ne_u32_e32 0x7f, v73
	s_cbranch_execz .LBB4_500
; %bb.497:                              ;   in Loop: Header=BB4_129 Depth=3
	v_dual_mov_b32 v17, v55 :: v_dual_bitop2_b32 v16, 7, v5 bitop3:0x40
	v_lshrrev_b32_e32 v18, 3, v73
	s_mov_b32 s24, exec_lo
	v_cmpx_gt_u32_e32 8, v73
; %bb.498:                              ;   in Loop: Header=BB4_129 Depth=3
	s_delay_alu instid0(VALU_DEP_3) | instskip(NEXT) | instid1(VALU_DEP_1)
	v_clz_i32_u32_e32 v18, v16
	v_min_u32_e32 v18, 32, v18
	s_delay_alu instid0(VALU_DEP_1) | instskip(NEXT) | instid1(VALU_DEP_1)
	v_subrev_nc_u32_e32 v73, 28, v18
	v_lshlrev_b64_e32 v[16:17], v73, v[16:17]
	s_delay_alu instid0(VALU_DEP_1)
	v_dual_sub_nc_u32 v18, 29, v18 :: v_dual_bitop2_b32 v16, 7, v16 bitop3:0x40
; %bb.499:                              ;   in Loop: Header=BB4_129 Depth=3
	s_or_b32 exec_lo, exec_lo, s24
	s_delay_alu instid0(VALU_DEP_1) | instskip(NEXT) | instid1(VALU_DEP_2)
	v_dual_lshlrev_b32 v5, 24, v5 :: v_dual_lshlrev_b32 v16, 20, v16
	v_lshl_add_u32 v17, v18, 23, 0x3c000000
	s_delay_alu instid0(VALU_DEP_2) | instskip(NEXT) | instid1(VALU_DEP_1)
	v_and_b32_e32 v5, 0x80000000, v5
	v_or3_b32 v16, v16, v5, v17
.LBB4_500:                              ;   in Loop: Header=BB4_129 Depth=3
	s_or_b32 exec_lo, exec_lo, s23
.LBB4_501:                              ;   in Loop: Header=BB4_129 Depth=3
	s_delay_alu instid0(SALU_CYCLE_1)
	s_or_b32 exec_lo, exec_lo, s22
.LBB4_502:                              ;   in Loop: Header=BB4_129 Depth=3
	s_delay_alu instid0(SALU_CYCLE_1) | instskip(NEXT) | instid1(SALU_CYCLE_1)
	s_or_b32 exec_lo, exec_lo, s21
	s_mov_b32 s21, exec_lo
	v_cmpx_lt_u32_e32 0xffffff, v4
	s_cbranch_execz .LBB4_510
; %bb.503:                              ;   in Loop: Header=BB4_129 Depth=3
	v_bfrev_b32_e32 v19, 1
	s_mov_b32 s22, exec_lo
	v_cmpx_ne_u32_e32 0x80, v45
	s_cbranch_execz .LBB4_509
; %bb.504:                              ;   in Loop: Header=BB4_129 Depth=3
	v_bfe_u32 v18, v4, 24, 7
	v_mov_b32_e32 v19, 0x7f800001
	s_mov_b32 s23, exec_lo
	s_delay_alu instid0(VALU_DEP_2)
	v_cmpx_ne_u32_e32 0x7f, v18
	s_cbranch_execz .LBB4_508
; %bb.505:                              ;   in Loop: Header=BB4_129 Depth=3
	v_dual_mov_b32 v5, v55 :: v_dual_bitop2_b32 v4, 7, v45 bitop3:0x40
	v_lshrrev_b32_e32 v17, 3, v18
	s_mov_b32 s24, exec_lo
	v_cmpx_gt_u32_e32 8, v18
; %bb.506:                              ;   in Loop: Header=BB4_129 Depth=3
	s_delay_alu instid0(VALU_DEP_3) | instskip(NEXT) | instid1(VALU_DEP_1)
	v_clz_i32_u32_e32 v17, v4
	v_min_u32_e32 v17, 32, v17
	s_delay_alu instid0(VALU_DEP_1) | instskip(NEXT) | instid1(VALU_DEP_1)
	v_subrev_nc_u32_e32 v18, 28, v17
	v_lshlrev_b64_e32 v[4:5], v18, v[4:5]
	s_delay_alu instid0(VALU_DEP_1)
	v_dual_sub_nc_u32 v17, 29, v17 :: v_dual_bitop2_b32 v4, 7, v4 bitop3:0x40
; %bb.507:                              ;   in Loop: Header=BB4_129 Depth=3
	s_or_b32 exec_lo, exec_lo, s24
	s_delay_alu instid0(VALU_DEP_1) | instskip(NEXT) | instid1(VALU_DEP_2)
	v_dual_lshlrev_b32 v5, 24, v45 :: v_dual_lshlrev_b32 v4, 20, v4
	v_lshl_add_u32 v17, v17, 23, 0x3c000000
	s_delay_alu instid0(VALU_DEP_2) | instskip(NEXT) | instid1(VALU_DEP_1)
	v_and_b32_e32 v5, 0x80000000, v5
	v_or3_b32 v19, v4, v5, v17
.LBB4_508:                              ;   in Loop: Header=BB4_129 Depth=3
	s_or_b32 exec_lo, exec_lo, s23
.LBB4_509:                              ;   in Loop: Header=BB4_129 Depth=3
	s_delay_alu instid0(SALU_CYCLE_1)
	s_or_b32 exec_lo, exec_lo, s22
.LBB4_510:                              ;   in Loop: Header=BB4_129 Depth=3
	s_delay_alu instid0(SALU_CYCLE_1) | instskip(NEXT) | instid1(VALU_DEP_1)
	s_or_b32 exec_lo, exec_lo, s21
	v_dual_max_num_f32 v4, v19, v19 :: v_dual_max_num_f32 v5, v16, v16
                                        ; implicit-def: $vgpr45
                                        ; implicit-def: $vgpr18_vgpr19
	s_delay_alu instid0(VALU_DEP_1)
	v_max_num_f32_e32 v16, v5, v4
                                        ; implicit-def: $vgpr4_vgpr5
                                        ; implicit-def: $vgpr5
.LBB4_511:                              ;   in Loop: Header=BB4_129 Depth=3
	s_and_not1_saveexec_b32 s9, s20
	s_cbranch_execz .LBB4_529
; %bb.512:                              ;   in Loop: Header=BB4_129 Depth=3
	v_dual_mov_b32 v19, 0 :: v_dual_mov_b32 v16, 0
	s_and_saveexec_b32 s20, vcc_lo
	s_cbranch_execz .LBB4_520
; %bb.513:                              ;   in Loop: Header=BB4_129 Depth=3
	v_bfrev_b32_e32 v16, 1
	s_mov_b32 s21, exec_lo
	v_cmpx_ne_u32_e32 0x80, v5
	s_cbranch_execz .LBB4_519
; %bb.514:                              ;   in Loop: Header=BB4_129 Depth=3
	v_bfe_u32 v73, v18, 24, 7
	v_mov_b32_e32 v16, 0x7f800001
	s_mov_b32 s22, exec_lo
	s_delay_alu instid0(VALU_DEP_2)
	v_cmpx_ne_u32_e32 0x7f, v73
	s_cbranch_execz .LBB4_518
; %bb.515:                              ;   in Loop: Header=BB4_129 Depth=3
	v_dual_mov_b32 v17, v55 :: v_dual_bitop2_b32 v16, 7, v5 bitop3:0x40
	v_lshrrev_b32_e32 v18, 3, v73
	s_mov_b32 s23, exec_lo
	v_cmpx_gt_u32_e32 8, v73
; %bb.516:                              ;   in Loop: Header=BB4_129 Depth=3
	s_delay_alu instid0(VALU_DEP_3) | instskip(NEXT) | instid1(VALU_DEP_1)
	v_clz_i32_u32_e32 v18, v16
	v_min_u32_e32 v18, 32, v18
	s_delay_alu instid0(VALU_DEP_1) | instskip(NEXT) | instid1(VALU_DEP_1)
	v_subrev_nc_u32_e32 v73, 28, v18
	v_lshlrev_b64_e32 v[16:17], v73, v[16:17]
	s_delay_alu instid0(VALU_DEP_1)
	v_dual_sub_nc_u32 v18, 29, v18 :: v_dual_bitop2_b32 v16, 7, v16 bitop3:0x40
; %bb.517:                              ;   in Loop: Header=BB4_129 Depth=3
	s_or_b32 exec_lo, exec_lo, s23
	s_delay_alu instid0(VALU_DEP_1) | instskip(NEXT) | instid1(VALU_DEP_2)
	v_dual_lshlrev_b32 v5, 24, v5 :: v_dual_lshlrev_b32 v16, 20, v16
	v_lshl_add_u32 v17, v18, 23, 0x3c000000
	s_delay_alu instid0(VALU_DEP_2) | instskip(NEXT) | instid1(VALU_DEP_1)
	v_and_b32_e32 v5, 0x80000000, v5
	v_or3_b32 v16, v16, v5, v17
.LBB4_518:                              ;   in Loop: Header=BB4_129 Depth=3
	s_or_b32 exec_lo, exec_lo, s22
.LBB4_519:                              ;   in Loop: Header=BB4_129 Depth=3
	s_delay_alu instid0(SALU_CYCLE_1)
	s_or_b32 exec_lo, exec_lo, s21
.LBB4_520:                              ;   in Loop: Header=BB4_129 Depth=3
	s_delay_alu instid0(SALU_CYCLE_1) | instskip(NEXT) | instid1(SALU_CYCLE_1)
	s_or_b32 exec_lo, exec_lo, s20
	s_mov_b32 s20, exec_lo
	v_cmpx_lt_u32_e32 0xffffff, v4
	s_cbranch_execz .LBB4_528
; %bb.521:                              ;   in Loop: Header=BB4_129 Depth=3
	v_bfrev_b32_e32 v19, 1
	s_mov_b32 s21, exec_lo
	v_cmpx_ne_u32_e32 0x80, v45
	s_cbranch_execz .LBB4_527
; %bb.522:                              ;   in Loop: Header=BB4_129 Depth=3
	v_bfe_u32 v18, v4, 24, 7
	v_mov_b32_e32 v19, 0x7f800001
	s_mov_b32 s22, exec_lo
	s_delay_alu instid0(VALU_DEP_2)
	v_cmpx_ne_u32_e32 0x7f, v18
	s_cbranch_execz .LBB4_526
; %bb.523:                              ;   in Loop: Header=BB4_129 Depth=3
	v_dual_mov_b32 v5, v55 :: v_dual_bitop2_b32 v4, 7, v45 bitop3:0x40
	v_lshrrev_b32_e32 v17, 3, v18
	s_mov_b32 s23, exec_lo
	v_cmpx_gt_u32_e32 8, v18
; %bb.524:                              ;   in Loop: Header=BB4_129 Depth=3
	s_delay_alu instid0(VALU_DEP_3) | instskip(NEXT) | instid1(VALU_DEP_1)
	v_clz_i32_u32_e32 v17, v4
	v_min_u32_e32 v17, 32, v17
	s_delay_alu instid0(VALU_DEP_1) | instskip(NEXT) | instid1(VALU_DEP_1)
	v_subrev_nc_u32_e32 v18, 28, v17
	v_lshlrev_b64_e32 v[4:5], v18, v[4:5]
	s_delay_alu instid0(VALU_DEP_1)
	v_dual_sub_nc_u32 v17, 29, v17 :: v_dual_bitop2_b32 v4, 7, v4 bitop3:0x40
; %bb.525:                              ;   in Loop: Header=BB4_129 Depth=3
	s_or_b32 exec_lo, exec_lo, s23
	s_delay_alu instid0(VALU_DEP_1) | instskip(NEXT) | instid1(VALU_DEP_2)
	v_dual_lshlrev_b32 v5, 24, v45 :: v_dual_lshlrev_b32 v4, 20, v4
	v_lshl_add_u32 v17, v17, 23, 0x3c000000
	s_delay_alu instid0(VALU_DEP_2) | instskip(NEXT) | instid1(VALU_DEP_1)
	v_and_b32_e32 v5, 0x80000000, v5
	v_or3_b32 v19, v4, v5, v17
.LBB4_526:                              ;   in Loop: Header=BB4_129 Depth=3
	s_or_b32 exec_lo, exec_lo, s22
.LBB4_527:                              ;   in Loop: Header=BB4_129 Depth=3
	s_delay_alu instid0(SALU_CYCLE_1)
	s_or_b32 exec_lo, exec_lo, s21
.LBB4_528:                              ;   in Loop: Header=BB4_129 Depth=3
	s_delay_alu instid0(SALU_CYCLE_1) | instskip(NEXT) | instid1(VALU_DEP_1)
	s_or_b32 exec_lo, exec_lo, s20
	v_dual_max_num_f32 v4, v19, v19 :: v_dual_max_num_f32 v5, v16, v16
	s_delay_alu instid0(VALU_DEP_1)
	v_min_num_f32_e32 v16, v5, v4
.LBB4_529:                              ;   in Loop: Header=BB4_129 Depth=3
	s_or_b32 exec_lo, exec_lo, s9
	s_delay_alu instid0(VALU_DEP_1) | instskip(SKIP_1) | instid1(VALU_DEP_1)
	v_and_b32_e32 v4, 0x7f800000, v16
	v_mov_b32_e32 v5, v55
	v_cmp_ne_u64_e32 vcc_lo, 0x7f800000, v[4:5]
	v_lshrrev_b32_e32 v5, 24, v16
                                        ; implicit-def: $vgpr4
	s_and_saveexec_b32 s9, vcc_lo
	s_delay_alu instid0(SALU_CYCLE_1)
	s_xor_b32 s20, exec_lo, s9
	s_cbranch_execz .LBB4_543
; %bb.530:                              ;   in Loop: Header=BB4_129 Depth=3
	v_and_b32_e32 v18, 0x7fffffff, v16
	v_mov_b32_e32 v19, v55
                                        ; implicit-def: $vgpr4
	s_delay_alu instid0(VALU_DEP_1) | instskip(SKIP_2) | instid1(SALU_CYCLE_1)
	v_cmp_gt_u64_e32 vcc_lo, 0x43e00001, v[18:19]
	v_and_b32_e32 v18, 0x80, v5
	s_and_saveexec_b32 s9, vcc_lo
	s_xor_b32 s21, exec_lo, s9
	s_cbranch_execz .LBB4_540
; %bb.531:                              ;   in Loop: Header=BB4_129 Depth=3
	v_mov_b32_e32 v4, 0
	s_mov_b32 s22, exec_lo
	v_cmpx_ne_u32_e32 0, v16
	s_cbranch_execz .LBB4_539
; %bb.532:                              ;   in Loop: Header=BB4_129 Depth=3
	v_bfe_u32 v19, v16, 23, 8
	v_and_b32_e32 v16, 0x7fffff, v16
	s_mov_b32 s23, exec_lo
	s_delay_alu instid0(VALU_DEP_2) | instskip(SKIP_1) | instid1(VALU_DEP_3)
	v_sub_nc_u32_e32 v4, 0x79, v19
	v_cmp_gt_u32_e32 vcc_lo, 0x7a, v19
	v_or_b32_e32 v17, 0x800000, v16
	s_delay_alu instid0(VALU_DEP_3) | instskip(SKIP_1) | instid1(VALU_DEP_2)
	v_cndmask_b32_e32 v4, 0, v4, vcc_lo
	v_cmp_eq_u32_e32 vcc_lo, 0, v19
	v_cndmask_b32_e64 v45, v4, 0x78, vcc_lo
	s_delay_alu instid0(VALU_DEP_4) | instskip(NEXT) | instid1(VALU_DEP_2)
	v_dual_cndmask_b32 v16, v17, v16 :: v_dual_mov_b32 v17, v55
	v_dual_add_nc_u32 v4, 20, v45 :: v_dual_add_nc_u32 v73, 19, v45
	s_delay_alu instid0(VALU_DEP_1) | instskip(NEXT) | instid1(VALU_DEP_2)
	v_lshlrev_b64_e64 v[4:5], v4, -1
	v_lshlrev_b64_e64 v[74:75], v73, 1
	s_delay_alu instid0(VALU_DEP_2) | instskip(NEXT) | instid1(VALU_DEP_3)
	v_bfi_b32 v77, v5, 0, 0
	v_bfi_b32 v76, v4, 0, v16
	v_lshrrev_b64 v[4:5], v45, v[16:17]
	s_delay_alu instid0(VALU_DEP_1) | instskip(NEXT) | instid1(VALU_DEP_3)
	v_mov_b64_e32 v[16:17], v[4:5]
	v_cmpx_eq_u64_e64 v[76:77], v[74:75]
; %bb.533:                              ;   in Loop: Header=BB4_129 Depth=3
	v_bfe_u32 v16, v4, 20, 1
	v_mov_b32_e32 v17, v55
	s_delay_alu instid0(VALU_DEP_1) | instskip(NEXT) | instid1(VALU_DEP_1)
	v_add_nc_u64_e32 v[16:17], v[4:5], v[16:17]
	v_add_nc_u64_e32 v[16:17], -1, v[16:17]
; %bb.534:                              ;   in Loop: Header=BB4_129 Depth=3
	s_or_b32 exec_lo, exec_lo, s23
	v_add_nc_u32_e32 v5, 0xffffff81, v19
	v_lshrrev_b32_e32 v17, 23, v4
	s_mov_b32 s9, exec_lo
	s_delay_alu instid0(VALU_DEP_2) | instskip(NEXT) | instid1(VALU_DEP_1)
	v_cndmask_b32_e64 v5, v5, 0xffffff82, vcc_lo
	v_add3_u32 v17, v45, v5, v17
	v_and_b32_e32 v5, 0xfffff, v16
                                        ; implicit-def: $vgpr16
	s_delay_alu instid0(VALU_DEP_1) | instskip(SKIP_1) | instid1(VALU_DEP_2)
	v_dual_add_nc_u32 v19, 6, v17 :: v_dual_add_nc_u32 v4, v5, v4
	v_mov_b32_e32 v5, v55
	v_cmpx_ne_u32_e32 0, v19
	s_xor_b32 s9, exec_lo, s9
; %bb.535:                              ;   in Loop: Header=BB4_129 Depth=3
	s_delay_alu instid0(VALU_DEP_2) | instskip(SKIP_2) | instid1(VALU_DEP_2)
	v_cmp_lt_u64_e32 vcc_lo, 0xffffff, v[4:5]
	v_add_nc_u32_e32 v16, 7, v17
	v_cndmask_b32_e64 v17, 0, 1, vcc_lo
	v_cndmask_b32_e32 v16, v19, v16, vcc_lo
	s_delay_alu instid0(VALU_DEP_2)
	v_lshrrev_b64 v[4:5], v17, v[4:5]
; %bb.536:                              ;   in Loop: Header=BB4_129 Depth=3
	s_and_not1_saveexec_b32 s9, s9
; %bb.537:                              ;   in Loop: Header=BB4_129 Depth=3
	s_delay_alu instid0(VALU_DEP_1)
	v_bfe_u32 v16, v4, 23, 1
; %bb.538:                              ;   in Loop: Header=BB4_129 Depth=3
	s_or_b32 exec_lo, exec_lo, s9
	s_delay_alu instid0(VALU_DEP_2) | instskip(NEXT) | instid1(VALU_DEP_2)
	v_lshrrev_b64 v[4:5], 20, v[4:5]
	v_cmp_gt_i32_e32 vcc_lo, 16, v16
	v_min_i32_e32 v17, 15, v16
	v_cmp_eq_u32_e64 s9, 0, v16
	s_delay_alu instid0(VALU_DEP_4) | instskip(NEXT) | instid1(VALU_DEP_3)
	v_cndmask_b32_e32 v5, 0, v5, vcc_lo
	v_dual_cndmask_b32 v4, 7, v4 :: v_dual_lshlrev_b32 v17, 3, v17
	s_delay_alu instid0(VALU_DEP_1) | instskip(NEXT) | instid1(VALU_DEP_2)
	v_and_b32_e32 v17, 0xf8, v17
	v_cmp_eq_u64_e32 vcc_lo, 0, v[4:5]
	s_delay_alu instid0(VALU_DEP_2)
	v_and_or_b32 v4, v4, 7, v17
	s_and_b32 s9, s9, vcc_lo
	s_delay_alu instid0(VALU_DEP_1) | instid1(SALU_CYCLE_1)
	v_cndmask_b32_e64 v4, v4, 0, s9
	s_delay_alu instid0(VALU_DEP_1)
	v_or_b32_e32 v4, v4, v18
.LBB4_539:                              ;   in Loop: Header=BB4_129 Depth=3
	s_or_b32 exec_lo, exec_lo, s22
                                        ; implicit-def: $vgpr18
.LBB4_540:                              ;   in Loop: Header=BB4_129 Depth=3
	s_and_not1_saveexec_b32 s9, s21
; %bb.541:                              ;   in Loop: Header=BB4_129 Depth=3
	v_or_b32_e32 v4, 0x7e, v18
; %bb.542:                              ;   in Loop: Header=BB4_129 Depth=3
	s_or_b32 exec_lo, exec_lo, s9
                                        ; implicit-def: $vgpr5
.LBB4_543:                              ;   in Loop: Header=BB4_129 Depth=3
	s_and_not1_saveexec_b32 s9, s20
	s_cbranch_execz .LBB4_128
; %bb.544:                              ;   in Loop: Header=BB4_129 Depth=3
	v_or_b32_e32 v4, 0x7f, v5
	s_branch .LBB4_128
.LBB4_545:                              ;   in Loop: Header=BB4_85 Depth=2
	s_or_b32 exec_lo, exec_lo, s19
	s_delay_alu instid0(SALU_CYCLE_1)
	s_or_b32 exec_lo, exec_lo, s18
	s_and_saveexec_b32 s9, s3
	s_cbranch_execz .LBB4_122
.LBB4_546:                              ;   in Loop: Header=BB4_85 Depth=2
	s_and_saveexec_b32 s18, s4
	s_delay_alu instid0(SALU_CYCLE_1)
	s_xor_b32 s18, exec_lo, s18
	s_cbranch_execz .LBB4_561
; %bb.547:                              ;   in Loop: Header=BB4_85 Depth=2
	s_and_saveexec_b32 s19, s5
	s_cbranch_execz .LBB4_560
; %bb.548:                              ;   in Loop: Header=BB4_85 Depth=2
	s_mov_b32 s21, exec_lo
	s_mov_b32 s20, exec_lo
	v_mbcnt_lo_u32_b32 v2, s21, 0
	global_wb scope:SCOPE_DEV
	s_wait_storecnt 0x0
	s_wait_loadcnt_dscnt 0x0
	global_inv scope:SCOPE_DEV
	v_cmpx_eq_u32_e32 0, v2
	s_cbranch_execz .LBB4_550
; %bb.549:                              ;   in Loop: Header=BB4_85 Depth=2
	s_bcnt1_i32_b32 s21, s21
	s_delay_alu instid0(SALU_CYCLE_1)
	v_dual_mov_b32 v5, v55 :: v_dual_mov_b32 v4, s21
	s_wait_loadcnt 0x0
	ds_add_u64 v0, v[4:5]
	s_trap 2
.LBB4_550:                              ;   in Loop: Header=BB4_85 Depth=2
	s_or_b32 exec_lo, exec_lo, s20
	s_trap 2
	ds_load_b64 v[4:5], v0
	s_wait_dscnt 0x0
	v_add_nc_u64_e32 v[52:53], v[52:53], v[82:83]
	s_mov_b32 s20, exec_lo
	s_delay_alu instid0(VALU_DEP_1)
	v_cmpx_lt_u64_e64 v[4:5], v[52:53]
	s_cbranch_execz .LBB4_559
; %bb.551:                              ;   in Loop: Header=BB4_85 Depth=2
	s_mov_b32 s21, 0
	s_mov_b32 s24, 0
                                        ; implicit-def: $sgpr22
                                        ; implicit-def: $sgpr23
	s_branch .LBB4_553
.LBB4_552:                              ;   in Loop: Header=BB4_553 Depth=3
	s_or_b32 exec_lo, exec_lo, s26
	s_delay_alu instid0(SALU_CYCLE_1) | instskip(NEXT) | instid1(SALU_CYCLE_1)
	s_and_b32 s25, exec_lo, s27
	s_or_b32 s21, s25, s21
	s_and_not1_b32 s22, s22, exec_lo
	s_and_b32 s25, s23, exec_lo
	s_delay_alu instid0(SALU_CYCLE_1)
	s_or_b32 s22, s22, s25
	s_and_not1_b32 exec_lo, exec_lo, s21
	s_cbranch_execz .LBB4_557
.LBB4_553:                              ;   Parent Loop BB4_36 Depth=1
                                        ;     Parent Loop BB4_85 Depth=2
                                        ; =>    This Inner Loop Header: Depth=3
	s_add_co_i32 s24, s24, 1
	s_delay_alu instid0(SALU_CYCLE_1) | instskip(SKIP_1) | instid1(SALU_CYCLE_1)
	s_cmp_lg_u32 s24, 0x2710
	s_cselect_b32 s25, -1, 0
	s_and_b32 vcc_lo, exec_lo, s25
	s_cbranch_vccz .LBB4_555
; %bb.554:                              ;   in Loop: Header=BB4_553 Depth=3
	s_mov_b32 s27, -1
	s_or_b32 s23, s23, exec_lo
	s_and_saveexec_b32 s26, s25
	s_cbranch_execz .LBB4_552
	s_branch .LBB4_556
.LBB4_555:                              ;   in Loop: Header=BB4_553 Depth=3
	s_trap 2
	ds_load_b64 v[4:5], v0
	s_and_not1_b32 s25, s25, exec_lo
	s_mov_b32 s24, 0
	s_wait_loadcnt_dscnt 0x0
	flat_load_b32 v2, v[4:5] scope:SCOPE_SYS
	s_wait_loadcnt_dscnt 0x0
	global_inv scope:SCOPE_SYS
	v_cmp_eq_u32_e32 vcc_lo, 0, v2
	s_and_b32 s26, vcc_lo, exec_lo
	s_delay_alu instid0(SALU_CYCLE_1)
	s_or_b32 s25, s25, s26
	s_mov_b32 s27, -1
	s_or_b32 s23, s23, exec_lo
	s_and_saveexec_b32 s26, s25
	s_cbranch_execz .LBB4_552
.LBB4_556:                              ;   in Loop: Header=BB4_553 Depth=3
	s_sleep 1
	s_trap 2
	ds_load_b64 v[4:5], v0
	s_wait_dscnt 0x0
	s_and_not1_b32 s23, s23, exec_lo
	v_cmp_ge_u64_e32 vcc_lo, v[4:5], v[52:53]
	s_or_not1_b32 s27, vcc_lo, exec_lo
	s_branch .LBB4_552
.LBB4_557:                              ;   in Loop: Header=BB4_85 Depth=2
	s_or_b32 exec_lo, exec_lo, s21
	s_and_saveexec_b32 s21, s22
	s_delay_alu instid0(SALU_CYCLE_1)
	s_xor_b32 s21, exec_lo, s21
	s_cbranch_execz .LBB4_559
; %bb.558:                              ;   in Loop: Header=BB4_85 Depth=2
	ds_store_b32 v0, v1
	s_trap 2
.LBB4_559:                              ;   in Loop: Header=BB4_85 Depth=2
	s_or_b32 exec_lo, exec_lo, s20
	;;#ASMSTART
	s_wakeup
	;;#ASMEND
.LBB4_560:                              ;   in Loop: Header=BB4_85 Depth=2
	s_or_b32 exec_lo, exec_lo, s19
.LBB4_561:                              ;   in Loop: Header=BB4_85 Depth=2
	s_and_not1_saveexec_b32 s18, s18
	s_cbranch_execz .LBB4_563
; %bb.562:                              ;   in Loop: Header=BB4_85 Depth=2
	global_wb scope:SCOPE_DEV
	s_wait_storecnt 0x0
	s_wait_loadcnt_dscnt 0x0
	global_inv scope:SCOPE_DEV
	s_barrier_signal -1
	s_barrier_wait -1
.LBB4_563:                              ;   in Loop: Header=BB4_85 Depth=2
	s_or_b32 exec_lo, exec_lo, s18
	s_delay_alu instid0(SALU_CYCLE_1)
	s_or_b32 exec_lo, exec_lo, s9
	s_and_saveexec_b32 s9, s7
	s_cbranch_execnz .LBB4_123
	s_branch .LBB4_124
.LBB4_564:                              ;   in Loop: Header=BB4_36 Depth=1
	s_delay_alu instid0(VALU_DEP_1)
	v_mov_b64_e32 v[16:17], v[114:115]
	s_and_saveexec_b32 s9, s8
	s_cbranch_execnz .LBB4_567
; %bb.565:                              ;   in Loop: Header=BB4_36 Depth=1
	s_or_b32 exec_lo, exec_lo, s9
	s_and_saveexec_b32 s8, s3
	s_cbranch_execnz .LBB4_1004
.LBB4_566:                              ;   in Loop: Header=BB4_36 Depth=1
	s_or_b32 exec_lo, exec_lo, s8
	s_and_saveexec_b32 s8, s7
	s_cbranch_execz .LBB4_35
	s_branch .LBB4_1022
.LBB4_567:                              ;   in Loop: Header=BB4_36 Depth=1
	flat_load_b32 v4, v[22:23]
	v_add_nc_u64_e32 v[2:3], v[10:11], v[112:113]
	v_dual_mov_b32 v116, v0 :: v_dual_bitop2_b32 v5, 7, v34 bitop3:0x40
	s_mov_b32 s17, 0
	v_add_nc_u32_e32 v42, 1, v34
	s_wait_loadcnt_dscnt 0x0
	s_delay_alu instid0(VALU_DEP_3) | instskip(SKIP_1) | instid1(VALU_DEP_2)
	v_mad_nc_u64_u32 v[2:3], v68, v4, v[2:3]
	v_ashrrev_i32_e32 v18, 31, v4
	v_mad_u32 v3, v69, v4, v3
	v_mul_lo_u32 v4, v5, s14
	s_delay_alu instid0(VALU_DEP_2) | instskip(NEXT) | instid1(VALU_DEP_2)
	v_mad_u32 v3, v68, v18, v3
	v_ashrrev_i32_e32 v5, 31, v4
	v_add_nc_u64_e32 v[18:19], v[8:9], v[112:113]
	s_delay_alu instid0(VALU_DEP_2) | instskip(NEXT) | instid1(VALU_DEP_4)
	v_lshl_add_u64 v[114:115], v[4:5], 4, v[32:33]
	v_add_nc_u64_e32 v[112:113], v[2:3], v[84:85]
	s_branch .LBB4_569
.LBB4_568:                              ;   in Loop: Header=BB4_569 Depth=2
	v_dual_sub_nc_u32 v57, v57, v86 :: v_dual_add_nc_u32 v116, v116, v20
	v_add_nc_u64_e32 v[112:113], v[112:113], v[86:87]
	s_wait_xcnt 0x0
	v_add_nc_u64_e32 v[18:19], v[18:19], v[86:87]
	s_delay_alu instid0(VALU_DEP_3) | instskip(SKIP_1) | instid1(SALU_CYCLE_1)
	v_cmp_gt_i32_e32 vcc_lo, 1, v57
	s_or_b32 s17, vcc_lo, s17
	s_and_not1_b32 exec_lo, exec_lo, s17
	s_cbranch_execz .LBB4_1003
.LBB4_569:                              ;   Parent Loop BB4_36 Depth=1
                                        ; =>  This Loop Header: Depth=2
                                        ;       Child Loop BB4_577 Depth 3
	s_delay_alu instid0(VALU_DEP_1)
	v_dual_mov_b32 v3, v113 :: v_dual_bitop2_b32 v2, -4, v112 bitop3:0x40
	v_min_u32_e32 v4, 8, v57
	v_dual_mov_b32 v44, 0 :: v_dual_bitop2_b32 v5, 3, v112 bitop3:0x40
	v_mov_b32_e32 v45, 0
	global_load_b32 v40, v[2:3], off th:TH_LOAD_NT
	s_mov_b32 s8, exec_lo
	v_add_nc_u32_e32 v54, v5, v4
	s_wait_xcnt 0x0
	s_delay_alu instid0(VALU_DEP_1)
	v_cmpx_lt_u32_e32 4, v54
	s_cbranch_execz .LBB4_571
; %bb.570:                              ;   in Loop: Header=BB4_569 Depth=2
	global_load_b32 v45, v[2:3], off offset:4 th:TH_LOAD_NT
.LBB4_571:                              ;   in Loop: Header=BB4_569 Depth=2
	s_wait_xcnt 0x0
	s_or_b32 exec_lo, exec_lo, s8
	s_delay_alu instid0(SALU_CYCLE_1)
	s_mov_b32 s8, exec_lo
	v_cmpx_lt_u64_e32 8, v[54:55]
	s_cbranch_execz .LBB4_573
; %bb.572:                              ;   in Loop: Header=BB4_569 Depth=2
	global_load_b32 v44, v[2:3], off offset:8 th:TH_LOAD_NT
.LBB4_573:                              ;   in Loop: Header=BB4_569 Depth=2
	s_wait_xcnt 0x0
	s_or_b32 exec_lo, exec_lo, s8
	v_mov_b32_e32 v117, v55
	v_cmp_eq_u32_e32 vcc_lo, 0, v21
	v_mov_b32_e32 v21, 1
	s_delay_alu instid0(VALU_DEP_3)
	v_lshl_add_u64 v[118:119], v[116:117], 4, v[114:115]
	global_load_b128 v[2:5], v[118:119], off th:TH_LOAD_NT
	s_wait_xcnt 0x0
	s_and_saveexec_b32 s18, vcc_lo
	s_cbranch_execz .LBB4_585
; %bb.574:                              ;   in Loop: Header=BB4_569 Depth=2
	s_wait_loadcnt 0x0
	v_cmp_ne_u32_e32 vcc_lo, v42, v3
	v_cmp_ne_u32_e64 s8, v42, v5
	v_mov_b32_e32 v21, 0
	s_or_b32 s8, vcc_lo, s8
	s_delay_alu instid0(SALU_CYCLE_1)
	s_and_saveexec_b32 s19, s8
	s_cbranch_execz .LBB4_584
; %bb.575:                              ;   in Loop: Header=BB4_569 Depth=2
	s_mov_b32 s23, 1
	s_mov_b32 s21, 0
                                        ; implicit-def: $sgpr20
                                        ; implicit-def: $sgpr22
	s_branch .LBB4_577
.LBB4_576:                              ;   in Loop: Header=BB4_577 Depth=3
	s_or_b32 exec_lo, exec_lo, s25
	s_delay_alu instid0(SALU_CYCLE_1) | instskip(NEXT) | instid1(SALU_CYCLE_1)
	s_and_b32 s8, exec_lo, s8
	s_or_b32 s21, s8, s21
	s_and_not1_b32 s8, s20, exec_lo
	s_and_b32 s20, s22, exec_lo
	s_delay_alu instid0(SALU_CYCLE_1)
	s_or_b32 s20, s8, s20
	s_and_not1_b32 exec_lo, exec_lo, s21
	s_cbranch_execz .LBB4_581
.LBB4_577:                              ;   Parent Loop BB4_36 Depth=1
                                        ;     Parent Loop BB4_569 Depth=2
                                        ; =>    This Inner Loop Header: Depth=3
	s_wait_loadcnt 0x0
	global_load_b128 v[2:5], v[118:119], off th:TH_LOAD_NT
	s_add_co_i32 s23, s23, 1
	s_mov_b32 s8, -1
	s_cmp_lg_u32 s23, 0x2710
	s_mov_b32 s24, -1
                                        ; implicit-def: $vgpr54
	s_cbranch_scc0 .LBB4_579
; %bb.578:                              ;   in Loop: Header=BB4_577 Depth=3
	s_or_b32 s22, s22, exec_lo
	s_wait_xcnt 0x0
	s_and_saveexec_b32 s25, s24
	s_cbranch_execz .LBB4_576
	s_branch .LBB4_580
.LBB4_579:                              ;   in Loop: Header=BB4_577 Depth=3
	s_trap 2
	ds_load_b64 v[46:47], v0
	s_mov_b32 s23, 0
	s_wait_storecnt 0x0
	s_wait_loadcnt_dscnt 0x0
	flat_load_b32 v54, v[46:47] scope:SCOPE_SYS
	s_wait_loadcnt_dscnt 0x0
	global_inv scope:SCOPE_SYS
	v_cmp_eq_u32_e32 vcc_lo, 0, v54
	s_or_not1_b32 s24, vcc_lo, exec_lo
	s_or_b32 s22, s22, exec_lo
	s_wait_xcnt 0x0
	s_and_saveexec_b32 s25, s24
	s_cbranch_execz .LBB4_576
.LBB4_580:                              ;   in Loop: Header=BB4_577 Depth=3
	s_wait_loadcnt 0x0
	v_cmp_eq_u32_e32 vcc_lo, v42, v3
	v_cmp_eq_u32_e64 s8, v42, v5
	s_and_not1_b32 s22, s22, exec_lo
	s_and_b32 s8, vcc_lo, s8
	s_delay_alu instid0(SALU_CYCLE_1)
	s_or_not1_b32 s8, s8, exec_lo
	s_branch .LBB4_576
.LBB4_581:                              ;   in Loop: Header=BB4_569 Depth=2
	s_or_b32 exec_lo, exec_lo, s21
	v_mov_b32_e32 v21, 0
	s_and_saveexec_b32 s8, s20
	s_delay_alu instid0(SALU_CYCLE_1)
	s_xor_b32 s8, exec_lo, s8
	s_cbranch_execz .LBB4_583
; %bb.582:                              ;   in Loop: Header=BB4_569 Depth=2
	v_mov_b32_e32 v21, 1
	s_wait_loadcnt 0x0
	s_wait_storecnt 0x0
	ds_store_b32 v0, v54
	s_trap 2
.LBB4_583:                              ;   in Loop: Header=BB4_569 Depth=2
	s_or_b32 exec_lo, exec_lo, s8
.LBB4_584:                              ;   in Loop: Header=BB4_569 Depth=2
	s_delay_alu instid0(SALU_CYCLE_1)
	s_or_b32 exec_lo, exec_lo, s19
.LBB4_585:                              ;   in Loop: Header=BB4_569 Depth=2
	s_delay_alu instid0(SALU_CYCLE_1) | instskip(SKIP_3) | instid1(VALU_DEP_2)
	s_or_b32 exec_lo, exec_lo, s18
	s_wait_loadcnt 0x0
	v_lshlrev_b32_e32 v5, 3, v112
	v_and_b32_e32 v119, 0xff, v2
                                        ; implicit-def: $vgpr118
	v_alignbit_b32 v54, v45, v40, v5
	s_delay_alu instid0(VALU_DEP_2) | instskip(SKIP_1) | instid1(SALU_CYCLE_1)
	v_cmp_ne_u16_e32 vcc_lo, 0, v119
	s_and_saveexec_b32 s8, s6
	s_xor_b32 s18, exec_lo, s8
	s_cbranch_execz .LBB4_599
; %bb.586:                              ;   in Loop: Header=BB4_569 Depth=2
	v_dual_mov_b32 v118, 0 :: v_dual_mov_b32 v117, 0
	s_and_saveexec_b32 s19, vcc_lo
	s_cbranch_execz .LBB4_592
; %bb.587:                              ;   in Loop: Header=BB4_569 Depth=2
	v_bfrev_b32_e32 v117, 1
	s_mov_b32 s20, exec_lo
	v_cmpx_ne_u16_e32 0x80, v119
	s_cbranch_execz .LBB4_591
; %bb.588:                              ;   in Loop: Header=BB4_569 Depth=2
	v_and_b32_e32 v119, 0x7f, v2
	v_mov_b32_e32 v117, 0x7f800001
	s_mov_b32 s21, exec_lo
	s_delay_alu instid0(VALU_DEP_2)
	v_cmpx_ne_u32_e32 0x7f, v119
	s_cbranch_execz .LBB4_590
; %bb.589:                              ;   in Loop: Header=BB4_569 Depth=2
	v_dual_lshrrev_b32 v40, 3, v119 :: v_dual_bitop2_b32 v117, 7, v2 bitop3:0x40
	v_cmp_gt_u32_e64 s8, 8, v119
	s_delay_alu instid0(VALU_DEP_2) | instskip(NEXT) | instid1(VALU_DEP_1)
	v_clz_i32_u32_e32 v117, v117
	v_min_u32_e32 v117, 32, v117
	s_delay_alu instid0(VALU_DEP_1) | instskip(SKIP_1) | instid1(VALU_DEP_2)
	v_subrev_nc_u32_e32 v41, 28, v117
	v_sub_nc_u32_e32 v117, 29, v117
	v_cndmask_b32_e64 v119, 0, v41, s8
	s_delay_alu instid0(VALU_DEP_2) | instskip(NEXT) | instid1(VALU_DEP_2)
	v_cndmask_b32_e64 v117, v40, v117, s8
	v_lshlrev_b64_e32 v[40:41], v119, v[2:3]
	v_lshlrev_b32_e32 v119, 24, v2
	s_delay_alu instid0(VALU_DEP_1) | instskip(NEXT) | instid1(VALU_DEP_3)
	v_and_b32_e32 v119, 0x80000000, v119
	v_lshlrev_b32_e32 v40, 20, v40
	v_lshl_add_u32 v117, v117, 23, 0x3c000000
	s_delay_alu instid0(VALU_DEP_2) | instskip(NEXT) | instid1(VALU_DEP_1)
	v_and_b32_e32 v40, 0x700000, v40
	v_or3_b32 v117, v40, v119, v117
.LBB4_590:                              ;   in Loop: Header=BB4_569 Depth=2
	s_or_b32 exec_lo, exec_lo, s21
.LBB4_591:                              ;   in Loop: Header=BB4_569 Depth=2
	s_delay_alu instid0(SALU_CYCLE_1)
	s_or_b32 exec_lo, exec_lo, s20
.LBB4_592:                              ;   in Loop: Header=BB4_569 Depth=2
	s_delay_alu instid0(SALU_CYCLE_1) | instskip(SKIP_2) | instid1(VALU_DEP_1)
	s_or_b32 exec_lo, exec_lo, s19
	v_and_b32_e32 v119, 0xff, v54
	s_mov_b32 s19, exec_lo
	v_cmpx_ne_u16_e32 0, v119
	s_cbranch_execz .LBB4_598
; %bb.593:                              ;   in Loop: Header=BB4_569 Depth=2
	v_bfrev_b32_e32 v118, 1
	s_mov_b32 s20, exec_lo
	v_cmpx_ne_u16_e32 0x80, v119
	s_cbranch_execz .LBB4_597
; %bb.594:                              ;   in Loop: Header=BB4_569 Depth=2
	v_and_b32_e32 v119, 0x7f, v54
	v_mov_b32_e32 v118, 0x7f800001
	s_mov_b32 s21, exec_lo
	s_delay_alu instid0(VALU_DEP_2)
	v_cmpx_ne_u32_e32 0x7f, v119
	s_cbranch_execz .LBB4_596
; %bb.595:                              ;   in Loop: Header=BB4_569 Depth=2
	v_dual_lshrrev_b32 v40, 3, v119 :: v_dual_bitop2_b32 v118, 7, v54 bitop3:0x40
	v_cmp_gt_u32_e64 s8, 8, v119
	s_delay_alu instid0(VALU_DEP_2) | instskip(NEXT) | instid1(VALU_DEP_1)
	v_clz_i32_u32_e32 v118, v118
	v_min_u32_e32 v118, 32, v118
	s_delay_alu instid0(VALU_DEP_1) | instskip(SKIP_1) | instid1(VALU_DEP_1)
	v_subrev_nc_u32_e32 v41, 28, v118
	v_sub_nc_u32_e32 v118, 29, v118
	v_dual_cndmask_b32 v40, v40, v118, s8 :: v_dual_cndmask_b32 v118, 0, v41, s8
	s_delay_alu instid0(VALU_DEP_1) | instskip(NEXT) | instid1(VALU_DEP_2)
	v_lshl_add_u32 v40, v40, 23, 0x3c000000
	v_lshlrev_b64_e32 v[118:119], v118, v[54:55]
	v_lshlrev_b32_e32 v119, 24, v54
	s_delay_alu instid0(VALU_DEP_1) | instskip(NEXT) | instid1(VALU_DEP_3)
	v_and_b32_e32 v119, 0x80000000, v119
	v_lshlrev_b32_e32 v118, 20, v118
	s_delay_alu instid0(VALU_DEP_1) | instskip(NEXT) | instid1(VALU_DEP_1)
	v_and_b32_e32 v118, 0x700000, v118
	v_or3_b32 v118, v118, v119, v40
.LBB4_596:                              ;   in Loop: Header=BB4_569 Depth=2
	s_or_b32 exec_lo, exec_lo, s21
.LBB4_597:                              ;   in Loop: Header=BB4_569 Depth=2
	s_delay_alu instid0(SALU_CYCLE_1)
	s_or_b32 exec_lo, exec_lo, s20
.LBB4_598:                              ;   in Loop: Header=BB4_569 Depth=2
	s_delay_alu instid0(SALU_CYCLE_1) | instskip(NEXT) | instid1(VALU_DEP_1)
	s_or_b32 exec_lo, exec_lo, s19
	v_dual_max_num_f32 v118, v118, v118 :: v_dual_max_num_f32 v117, v117, v117
                                        ; implicit-def: $vgpr119
	s_delay_alu instid0(VALU_DEP_1)
	v_max_num_f32_e32 v118, v117, v118
.LBB4_599:                              ;   in Loop: Header=BB4_569 Depth=2
	s_and_not1_saveexec_b32 s8, s18
	s_cbranch_execz .LBB4_613
; %bb.600:                              ;   in Loop: Header=BB4_569 Depth=2
	v_dual_mov_b32 v118, 0 :: v_dual_mov_b32 v117, 0
	s_and_saveexec_b32 s18, vcc_lo
	s_cbranch_execz .LBB4_606
; %bb.601:                              ;   in Loop: Header=BB4_569 Depth=2
	v_bfrev_b32_e32 v117, 1
	s_mov_b32 s19, exec_lo
	v_cmpx_ne_u16_e32 0x80, v119
	s_cbranch_execz .LBB4_605
; %bb.602:                              ;   in Loop: Header=BB4_569 Depth=2
	v_and_b32_e32 v119, 0x7f, v2
	v_mov_b32_e32 v117, 0x7f800001
	s_mov_b32 s20, exec_lo
	s_delay_alu instid0(VALU_DEP_2)
	v_cmpx_ne_u32_e32 0x7f, v119
	s_cbranch_execz .LBB4_604
; %bb.603:                              ;   in Loop: Header=BB4_569 Depth=2
	v_dual_lshrrev_b32 v40, 3, v119 :: v_dual_bitop2_b32 v117, 7, v2 bitop3:0x40
	v_cmp_gt_u32_e32 vcc_lo, 8, v119
	s_delay_alu instid0(VALU_DEP_2) | instskip(NEXT) | instid1(VALU_DEP_1)
	v_clz_i32_u32_e32 v117, v117
	v_min_u32_e32 v117, 32, v117
	s_delay_alu instid0(VALU_DEP_1) | instskip(SKIP_1) | instid1(VALU_DEP_2)
	v_subrev_nc_u32_e32 v41, 28, v117
	v_sub_nc_u32_e32 v117, 29, v117
	v_cndmask_b32_e32 v119, 0, v41, vcc_lo
	s_delay_alu instid0(VALU_DEP_2) | instskip(NEXT) | instid1(VALU_DEP_2)
	v_cndmask_b32_e32 v117, v40, v117, vcc_lo
	v_lshlrev_b64_e32 v[40:41], v119, v[2:3]
	v_lshlrev_b32_e32 v3, 24, v2
	s_delay_alu instid0(VALU_DEP_1) | instskip(NEXT) | instid1(VALU_DEP_3)
	v_and_b32_e32 v3, 0x80000000, v3
	v_lshlrev_b32_e32 v119, 20, v40
	v_lshl_add_u32 v117, v117, 23, 0x3c000000
	s_delay_alu instid0(VALU_DEP_2) | instskip(NEXT) | instid1(VALU_DEP_1)
	v_and_b32_e32 v119, 0x700000, v119
	v_or3_b32 v117, v119, v3, v117
.LBB4_604:                              ;   in Loop: Header=BB4_569 Depth=2
	s_or_b32 exec_lo, exec_lo, s20
.LBB4_605:                              ;   in Loop: Header=BB4_569 Depth=2
	s_delay_alu instid0(SALU_CYCLE_1)
	s_or_b32 exec_lo, exec_lo, s19
.LBB4_606:                              ;   in Loop: Header=BB4_569 Depth=2
	s_delay_alu instid0(SALU_CYCLE_1) | instskip(SKIP_2) | instid1(VALU_DEP_1)
	s_or_b32 exec_lo, exec_lo, s18
	v_and_b32_e32 v3, 0xff, v54
	s_mov_b32 s18, exec_lo
	v_cmpx_ne_u16_e32 0, v3
	s_cbranch_execz .LBB4_612
; %bb.607:                              ;   in Loop: Header=BB4_569 Depth=2
	v_bfrev_b32_e32 v118, 1
	s_mov_b32 s19, exec_lo
	v_cmpx_ne_u16_e32 0x80, v3
	s_cbranch_execz .LBB4_611
; %bb.608:                              ;   in Loop: Header=BB4_569 Depth=2
	v_and_b32_e32 v3, 0x7f, v54
	v_mov_b32_e32 v118, 0x7f800001
	s_mov_b32 s20, exec_lo
	s_delay_alu instid0(VALU_DEP_2)
	v_cmpx_ne_u32_e32 0x7f, v3
	s_cbranch_execz .LBB4_610
; %bb.609:                              ;   in Loop: Header=BB4_569 Depth=2
	v_dual_lshrrev_b32 v119, 3, v3 :: v_dual_bitop2_b32 v118, 7, v54 bitop3:0x40
	v_cmp_gt_u32_e32 vcc_lo, 8, v3
	s_delay_alu instid0(VALU_DEP_2) | instskip(NEXT) | instid1(VALU_DEP_1)
	v_clz_i32_u32_e32 v118, v118
	v_min_u32_e32 v118, 32, v118
	s_delay_alu instid0(VALU_DEP_1) | instskip(SKIP_1) | instid1(VALU_DEP_1)
	v_subrev_nc_u32_e32 v40, 28, v118
	v_sub_nc_u32_e32 v118, 29, v118
	v_dual_cndmask_b32 v3, v119, v118 :: v_dual_cndmask_b32 v118, 0, v40
	s_delay_alu instid0(VALU_DEP_1) | instskip(NEXT) | instid1(VALU_DEP_2)
	v_lshl_add_u32 v3, v3, 23, 0x3c000000
	v_lshlrev_b64_e32 v[118:119], v118, v[54:55]
	v_lshlrev_b32_e32 v119, 24, v54
	s_delay_alu instid0(VALU_DEP_1) | instskip(NEXT) | instid1(VALU_DEP_3)
	v_and_b32_e32 v119, 0x80000000, v119
	v_lshlrev_b32_e32 v118, 20, v118
	s_delay_alu instid0(VALU_DEP_1) | instskip(NEXT) | instid1(VALU_DEP_1)
	v_and_b32_e32 v118, 0x700000, v118
	v_or3_b32 v118, v118, v119, v3
.LBB4_610:                              ;   in Loop: Header=BB4_569 Depth=2
	s_or_b32 exec_lo, exec_lo, s20
.LBB4_611:                              ;   in Loop: Header=BB4_569 Depth=2
	s_delay_alu instid0(SALU_CYCLE_1)
	s_or_b32 exec_lo, exec_lo, s19
.LBB4_612:                              ;   in Loop: Header=BB4_569 Depth=2
	s_delay_alu instid0(SALU_CYCLE_1) | instskip(NEXT) | instid1(VALU_DEP_1)
	s_or_b32 exec_lo, exec_lo, s18
	v_dual_max_num_f32 v3, v118, v118 :: v_dual_max_num_f32 v117, v117, v117
	s_delay_alu instid0(VALU_DEP_1)
	v_min_num_f32_e32 v118, v117, v3
.LBB4_613:                              ;   in Loop: Header=BB4_569 Depth=2
	s_or_b32 exec_lo, exec_lo, s8
	s_delay_alu instid0(VALU_DEP_1) | instskip(SKIP_2) | instid1(VALU_DEP_1)
	v_and_b32_e32 v40, 0x7f800000, v118
	v_dual_mov_b32 v41, v55 :: v_dual_lshrrev_b32 v3, 24, v118
                                        ; implicit-def: $vgpr117
	s_mov_b32 s8, exec_lo
	v_cmpx_ne_u64_e32 0x7f800000, v[40:41]
	s_xor_b32 s18, exec_lo, s8
	s_cbranch_execz .LBB4_627
; %bb.614:                              ;   in Loop: Header=BB4_569 Depth=2
	v_and_b32_e32 v40, 0x7fffffff, v118
	v_mov_b32_e32 v41, v55
	v_and_b32_e32 v3, 0x80, v3
                                        ; implicit-def: $vgpr117
	s_mov_b32 s8, exec_lo
	s_delay_alu instid0(VALU_DEP_2)
	v_cmpx_gt_u64_e32 0x43e00001, v[40:41]
	s_xor_b32 s19, exec_lo, s8
	s_cbranch_execz .LBB4_624
; %bb.615:                              ;   in Loop: Header=BB4_569 Depth=2
	v_mov_b32_e32 v117, 0
	s_mov_b32 s20, exec_lo
	v_cmpx_ne_u32_e32 0, v118
	s_cbranch_execz .LBB4_623
; %bb.616:                              ;   in Loop: Header=BB4_569 Depth=2
	v_bfe_u32 v117, v118, 23, 8
	v_and_b32_e32 v40, 0x7fffff, v118
	s_mov_b32 s21, exec_lo
	s_delay_alu instid0(VALU_DEP_2) | instskip(NEXT) | instid1(VALU_DEP_2)
	v_cmp_gt_u32_e32 vcc_lo, 0x7a, v117
	v_or_b32_e32 v41, 0x800000, v40
	v_sub_nc_u32_e32 v119, 0x79, v117
	s_delay_alu instid0(VALU_DEP_1) | instskip(SKIP_1) | instid1(VALU_DEP_4)
	v_cndmask_b32_e32 v119, 0, v119, vcc_lo
	v_cmp_eq_u32_e32 vcc_lo, 0, v117
	v_dual_cndmask_b32 v40, v41, v40 :: v_dual_mov_b32 v41, v55
	s_delay_alu instid0(VALU_DEP_3) | instskip(NEXT) | instid1(VALU_DEP_1)
	v_cndmask_b32_e64 v43, v119, 0x78, vcc_lo
	v_dual_add_nc_u32 v118, 20, v43 :: v_dual_add_nc_u32 v46, 19, v43
	s_delay_alu instid0(VALU_DEP_1) | instskip(NEXT) | instid1(VALU_DEP_2)
	v_lshlrev_b64_e64 v[118:119], v118, -1
	v_lshlrev_b64_e64 v[46:47], v46, 1
	s_delay_alu instid0(VALU_DEP_2) | instskip(NEXT) | instid1(VALU_DEP_3)
	v_bfi_b32 v59, v119, 0, 0
	v_bfi_b32 v58, v118, 0, v40
	v_lshrrev_b64 v[118:119], v43, v[40:41]
	s_delay_alu instid0(VALU_DEP_1) | instskip(NEXT) | instid1(VALU_DEP_3)
	v_mov_b64_e32 v[40:41], v[118:119]
	v_cmpx_eq_u64_e64 v[58:59], v[46:47]
; %bb.617:                              ;   in Loop: Header=BB4_569 Depth=2
	v_bfe_u32 v40, v118, 20, 1
	v_mov_b32_e32 v41, v55
	s_delay_alu instid0(VALU_DEP_1) | instskip(NEXT) | instid1(VALU_DEP_1)
	v_add_nc_u64_e32 v[40:41], v[118:119], v[40:41]
	v_add_nc_u64_e32 v[40:41], -1, v[40:41]
; %bb.618:                              ;   in Loop: Header=BB4_569 Depth=2
	s_or_b32 exec_lo, exec_lo, s21
	v_add_nc_u32_e32 v117, 0xffffff81, v117
	v_lshrrev_b32_e32 v119, 23, v118
	s_mov_b32 s8, exec_lo
	s_delay_alu instid0(VALU_DEP_2) | instskip(NEXT) | instid1(VALU_DEP_1)
	v_cndmask_b32_e64 v117, v117, 0xffffff82, vcc_lo
	v_add3_u32 v41, v43, v117, v119
	v_and_b32_e32 v117, 0xfffff, v40
	s_delay_alu instid0(VALU_DEP_2) | instskip(NEXT) | instid1(VALU_DEP_2)
	v_dual_mov_b32 v119, v55 :: v_dual_add_nc_u32 v40, 6, v41
	v_add_nc_u32_e32 v118, v117, v118
                                        ; implicit-def: $vgpr117
	s_delay_alu instid0(VALU_DEP_2)
	v_cmpx_ne_u32_e32 0, v40
	s_xor_b32 s8, exec_lo, s8
; %bb.619:                              ;   in Loop: Header=BB4_569 Depth=2
	s_delay_alu instid0(VALU_DEP_2) | instskip(SKIP_1) | instid1(VALU_DEP_1)
	v_cmp_lt_u64_e32 vcc_lo, 0xffffff, v[118:119]
	v_add_nc_u32_e32 v117, 7, v41
	v_cndmask_b32_e32 v117, v40, v117, vcc_lo
	v_cndmask_b32_e64 v40, 0, 1, vcc_lo
	s_delay_alu instid0(VALU_DEP_1)
	v_lshrrev_b64 v[118:119], v40, v[118:119]
; %bb.620:                              ;   in Loop: Header=BB4_569 Depth=2
	s_and_not1_saveexec_b32 s8, s8
; %bb.621:                              ;   in Loop: Header=BB4_569 Depth=2
	s_delay_alu instid0(VALU_DEP_1)
	v_bfe_u32 v117, v118, 23, 1
; %bb.622:                              ;   in Loop: Header=BB4_569 Depth=2
	s_or_b32 exec_lo, exec_lo, s8
	s_delay_alu instid0(VALU_DEP_2) | instskip(NEXT) | instid1(VALU_DEP_2)
	v_lshrrev_b64 v[118:119], 20, v[118:119]
	v_cmp_gt_i32_e32 vcc_lo, 16, v117
	v_min_i32_e32 v40, 15, v117
	v_cmp_eq_u32_e64 s8, 0, v117
	s_delay_alu instid0(VALU_DEP_2) | instskip(SKIP_1) | instid1(VALU_DEP_2)
	v_dual_cndmask_b32 v119, 0, v119 :: v_dual_lshlrev_b32 v40, 3, v40
	v_cndmask_b32_e32 v118, 7, v118, vcc_lo
	v_and_b32_e32 v40, 0xf8, v40
	s_delay_alu instid0(VALU_DEP_2) | instskip(NEXT) | instid1(VALU_DEP_2)
	v_cmp_eq_u64_e32 vcc_lo, 0, v[118:119]
	v_and_or_b32 v117, v118, 7, v40
	s_and_b32 s8, s8, vcc_lo
	s_delay_alu instid0(VALU_DEP_1) | instid1(SALU_CYCLE_1)
	v_cndmask_b32_e64 v117, v117, 0, s8
	s_delay_alu instid0(VALU_DEP_1)
	v_or_b32_e32 v117, v117, v3
.LBB4_623:                              ;   in Loop: Header=BB4_569 Depth=2
	s_or_b32 exec_lo, exec_lo, s20
                                        ; implicit-def: $vgpr3
.LBB4_624:                              ;   in Loop: Header=BB4_569 Depth=2
	s_and_not1_saveexec_b32 s8, s19
; %bb.625:                              ;   in Loop: Header=BB4_569 Depth=2
	v_or_b32_e32 v117, 0x7e, v3
; %bb.626:                              ;   in Loop: Header=BB4_569 Depth=2
	s_or_b32 exec_lo, exec_lo, s8
                                        ; implicit-def: $vgpr3
.LBB4_627:                              ;   in Loop: Header=BB4_569 Depth=2
	s_and_not1_saveexec_b32 s8, s18
; %bb.628:                              ;   in Loop: Header=BB4_569 Depth=2
	v_or_b32_e32 v117, 0x7f, v3
; %bb.629:                              ;   in Loop: Header=BB4_569 Depth=2
	s_or_b32 exec_lo, exec_lo, s8
	v_lshrrev_b16 v119, 8, v2
	v_lshrrev_b16 v3, 8, v54
                                        ; implicit-def: $vgpr118
	s_delay_alu instid0(VALU_DEP_2) | instskip(SKIP_1) | instid1(SALU_CYCLE_1)
	v_cmp_ne_u16_e32 vcc_lo, 0, v119
	s_and_saveexec_b32 s8, s6
	s_xor_b32 s18, exec_lo, s8
	s_cbranch_execz .LBB4_647
; %bb.630:                              ;   in Loop: Header=BB4_569 Depth=2
	v_dual_mov_b32 v41, 0 :: v_dual_mov_b32 v40, 0
	s_and_saveexec_b32 s19, vcc_lo
	s_cbranch_execz .LBB4_638
; %bb.631:                              ;   in Loop: Header=BB4_569 Depth=2
	v_bfrev_b32_e32 v40, 1
	s_mov_b32 s20, exec_lo
	v_cmpx_ne_u16_e32 0x80, v119
	s_cbranch_execz .LBB4_637
; %bb.632:                              ;   in Loop: Header=BB4_569 Depth=2
	v_and_b32_e32 v118, 0xffff, v119
	v_mov_b32_e32 v40, 0x7f800001
	s_mov_b32 s21, exec_lo
	s_delay_alu instid0(VALU_DEP_2) | instskip(NEXT) | instid1(VALU_DEP_1)
	v_and_b32_e32 v43, 0x7f, v118
	v_cmpx_ne_u32_e32 0x7f, v43
	s_cbranch_execz .LBB4_636
; %bb.633:                              ;   in Loop: Header=BB4_569 Depth=2
	v_dual_mov_b32 v119, v55 :: v_dual_bitop2_b32 v118, 7, v118 bitop3:0x40
	v_lshrrev_b32_e32 v40, 3, v43
	s_mov_b32 s22, exec_lo
	v_cmpx_gt_u32_e32 8, v43
; %bb.634:                              ;   in Loop: Header=BB4_569 Depth=2
	s_delay_alu instid0(VALU_DEP_3) | instskip(NEXT) | instid1(VALU_DEP_1)
	v_clz_i32_u32_e32 v40, v118
	v_min_u32_e32 v40, 32, v40
	s_delay_alu instid0(VALU_DEP_1) | instskip(NEXT) | instid1(VALU_DEP_1)
	v_subrev_nc_u32_e32 v43, 28, v40
	v_lshlrev_b64_e32 v[118:119], v43, v[118:119]
	s_delay_alu instid0(VALU_DEP_1)
	v_dual_sub_nc_u32 v40, 29, v40 :: v_dual_bitop2_b32 v118, 7, v118 bitop3:0x40
; %bb.635:                              ;   in Loop: Header=BB4_569 Depth=2
	s_or_b32 exec_lo, exec_lo, s22
	v_lshlrev_b32_e32 v119, 16, v2
	s_delay_alu instid0(VALU_DEP_2) | instskip(NEXT) | instid1(VALU_DEP_3)
	v_lshlrev_b32_e32 v118, 20, v118
	v_lshl_add_u32 v40, v40, 23, 0x3c000000
	s_delay_alu instid0(VALU_DEP_3) | instskip(NEXT) | instid1(VALU_DEP_1)
	v_and_b32_e32 v119, 0x80000000, v119
	v_or3_b32 v40, v118, v119, v40
.LBB4_636:                              ;   in Loop: Header=BB4_569 Depth=2
	s_or_b32 exec_lo, exec_lo, s21
.LBB4_637:                              ;   in Loop: Header=BB4_569 Depth=2
	s_delay_alu instid0(SALU_CYCLE_1)
	s_or_b32 exec_lo, exec_lo, s20
.LBB4_638:                              ;   in Loop: Header=BB4_569 Depth=2
	s_delay_alu instid0(SALU_CYCLE_1) | instskip(NEXT) | instid1(SALU_CYCLE_1)
	s_or_b32 exec_lo, exec_lo, s19
	s_mov_b32 s19, exec_lo
	v_cmpx_ne_u16_e32 0, v3
	s_cbranch_execz .LBB4_646
; %bb.639:                              ;   in Loop: Header=BB4_569 Depth=2
	v_bfrev_b32_e32 v41, 1
	s_mov_b32 s20, exec_lo
	v_cmpx_ne_u16_e32 0x80, v3
	s_cbranch_execz .LBB4_645
; %bb.640:                              ;   in Loop: Header=BB4_569 Depth=2
	v_and_b32_e32 v3, 0xffff, v3
	v_mov_b32_e32 v41, 0x7f800001
	s_mov_b32 s21, exec_lo
	s_delay_alu instid0(VALU_DEP_2) | instskip(NEXT) | instid1(VALU_DEP_1)
	v_and_b32_e32 v43, 0x7f, v3
	v_cmpx_ne_u32_e32 0x7f, v43
	s_cbranch_execz .LBB4_644
; %bb.641:                              ;   in Loop: Header=BB4_569 Depth=2
	v_dual_mov_b32 v119, v55 :: v_dual_bitop2_b32 v118, 7, v3 bitop3:0x40
	v_lshrrev_b32_e32 v3, 3, v43
	s_mov_b32 s22, exec_lo
	v_cmpx_gt_u32_e32 8, v43
; %bb.642:                              ;   in Loop: Header=BB4_569 Depth=2
	s_delay_alu instid0(VALU_DEP_3) | instskip(NEXT) | instid1(VALU_DEP_1)
	v_clz_i32_u32_e32 v3, v118
	v_min_u32_e32 v3, 32, v3
	s_delay_alu instid0(VALU_DEP_1) | instskip(NEXT) | instid1(VALU_DEP_1)
	v_subrev_nc_u32_e32 v41, 28, v3
	v_lshlrev_b64_e32 v[118:119], v41, v[118:119]
	s_delay_alu instid0(VALU_DEP_1)
	v_dual_sub_nc_u32 v3, 29, v3 :: v_dual_bitop2_b32 v118, 7, v118 bitop3:0x40
; %bb.643:                              ;   in Loop: Header=BB4_569 Depth=2
	s_or_b32 exec_lo, exec_lo, s22
	v_lshlrev_b32_e32 v119, 16, v54
	s_delay_alu instid0(VALU_DEP_2) | instskip(NEXT) | instid1(VALU_DEP_3)
	v_lshlrev_b32_e32 v118, 20, v118
	v_lshl_add_u32 v3, v3, 23, 0x3c000000
	s_delay_alu instid0(VALU_DEP_3) | instskip(NEXT) | instid1(VALU_DEP_1)
	v_and_b32_e32 v119, 0x80000000, v119
	v_or3_b32 v41, v118, v119, v3
.LBB4_644:                              ;   in Loop: Header=BB4_569 Depth=2
	s_or_b32 exec_lo, exec_lo, s21
.LBB4_645:                              ;   in Loop: Header=BB4_569 Depth=2
	s_delay_alu instid0(SALU_CYCLE_1)
	s_or_b32 exec_lo, exec_lo, s20
.LBB4_646:                              ;   in Loop: Header=BB4_569 Depth=2
	s_delay_alu instid0(SALU_CYCLE_1) | instskip(NEXT) | instid1(VALU_DEP_1)
	s_or_b32 exec_lo, exec_lo, s19
	v_dual_max_num_f32 v3, v41, v41 :: v_dual_max_num_f32 v118, v40, v40
                                        ; implicit-def: $vgpr119
	s_delay_alu instid0(VALU_DEP_1)
	v_max_num_f32_e32 v118, v118, v3
                                        ; implicit-def: $vgpr3
.LBB4_647:                              ;   in Loop: Header=BB4_569 Depth=2
	s_and_not1_saveexec_b32 s8, s18
	s_cbranch_execz .LBB4_665
; %bb.648:                              ;   in Loop: Header=BB4_569 Depth=2
	v_dual_mov_b32 v41, 0 :: v_dual_mov_b32 v40, 0
	s_and_saveexec_b32 s18, vcc_lo
	s_cbranch_execz .LBB4_656
; %bb.649:                              ;   in Loop: Header=BB4_569 Depth=2
	v_bfrev_b32_e32 v40, 1
	s_mov_b32 s19, exec_lo
	v_cmpx_ne_u16_e32 0x80, v119
	s_cbranch_execz .LBB4_655
; %bb.650:                              ;   in Loop: Header=BB4_569 Depth=2
	v_and_b32_e32 v118, 0xffff, v119
	v_mov_b32_e32 v40, 0x7f800001
	s_mov_b32 s20, exec_lo
	s_delay_alu instid0(VALU_DEP_2) | instskip(NEXT) | instid1(VALU_DEP_1)
	v_and_b32_e32 v43, 0x7f, v118
	v_cmpx_ne_u32_e32 0x7f, v43
	s_cbranch_execz .LBB4_654
; %bb.651:                              ;   in Loop: Header=BB4_569 Depth=2
	v_dual_mov_b32 v119, v55 :: v_dual_bitop2_b32 v118, 7, v118 bitop3:0x40
	v_lshrrev_b32_e32 v40, 3, v43
	s_mov_b32 s21, exec_lo
	v_cmpx_gt_u32_e32 8, v43
; %bb.652:                              ;   in Loop: Header=BB4_569 Depth=2
	s_delay_alu instid0(VALU_DEP_3) | instskip(NEXT) | instid1(VALU_DEP_1)
	v_clz_i32_u32_e32 v40, v118
	v_min_u32_e32 v40, 32, v40
	s_delay_alu instid0(VALU_DEP_1) | instskip(NEXT) | instid1(VALU_DEP_1)
	v_subrev_nc_u32_e32 v43, 28, v40
	v_lshlrev_b64_e32 v[118:119], v43, v[118:119]
	s_delay_alu instid0(VALU_DEP_1)
	v_dual_sub_nc_u32 v40, 29, v40 :: v_dual_bitop2_b32 v118, 7, v118 bitop3:0x40
; %bb.653:                              ;   in Loop: Header=BB4_569 Depth=2
	s_or_b32 exec_lo, exec_lo, s21
	v_lshlrev_b32_e32 v119, 16, v2
	s_delay_alu instid0(VALU_DEP_2) | instskip(NEXT) | instid1(VALU_DEP_3)
	v_lshlrev_b32_e32 v118, 20, v118
	v_lshl_add_u32 v40, v40, 23, 0x3c000000
	s_delay_alu instid0(VALU_DEP_3) | instskip(NEXT) | instid1(VALU_DEP_1)
	v_and_b32_e32 v119, 0x80000000, v119
	v_or3_b32 v40, v118, v119, v40
.LBB4_654:                              ;   in Loop: Header=BB4_569 Depth=2
	s_or_b32 exec_lo, exec_lo, s20
.LBB4_655:                              ;   in Loop: Header=BB4_569 Depth=2
	s_delay_alu instid0(SALU_CYCLE_1)
	s_or_b32 exec_lo, exec_lo, s19
.LBB4_656:                              ;   in Loop: Header=BB4_569 Depth=2
	s_delay_alu instid0(SALU_CYCLE_1) | instskip(NEXT) | instid1(SALU_CYCLE_1)
	s_or_b32 exec_lo, exec_lo, s18
	s_mov_b32 s18, exec_lo
	v_cmpx_ne_u16_e32 0, v3
	s_cbranch_execz .LBB4_664
; %bb.657:                              ;   in Loop: Header=BB4_569 Depth=2
	v_bfrev_b32_e32 v41, 1
	s_mov_b32 s19, exec_lo
	v_cmpx_ne_u16_e32 0x80, v3
	s_cbranch_execz .LBB4_663
; %bb.658:                              ;   in Loop: Header=BB4_569 Depth=2
	v_and_b32_e32 v3, 0xffff, v3
	v_mov_b32_e32 v41, 0x7f800001
	s_mov_b32 s20, exec_lo
	s_delay_alu instid0(VALU_DEP_2) | instskip(NEXT) | instid1(VALU_DEP_1)
	v_and_b32_e32 v43, 0x7f, v3
	v_cmpx_ne_u32_e32 0x7f, v43
	s_cbranch_execz .LBB4_662
; %bb.659:                              ;   in Loop: Header=BB4_569 Depth=2
	v_dual_mov_b32 v119, v55 :: v_dual_bitop2_b32 v118, 7, v3 bitop3:0x40
	v_lshrrev_b32_e32 v3, 3, v43
	s_mov_b32 s21, exec_lo
	v_cmpx_gt_u32_e32 8, v43
; %bb.660:                              ;   in Loop: Header=BB4_569 Depth=2
	s_delay_alu instid0(VALU_DEP_3) | instskip(NEXT) | instid1(VALU_DEP_1)
	v_clz_i32_u32_e32 v3, v118
	v_min_u32_e32 v3, 32, v3
	s_delay_alu instid0(VALU_DEP_1) | instskip(NEXT) | instid1(VALU_DEP_1)
	v_subrev_nc_u32_e32 v41, 28, v3
	v_lshlrev_b64_e32 v[118:119], v41, v[118:119]
	s_delay_alu instid0(VALU_DEP_1)
	v_dual_sub_nc_u32 v3, 29, v3 :: v_dual_bitop2_b32 v118, 7, v118 bitop3:0x40
; %bb.661:                              ;   in Loop: Header=BB4_569 Depth=2
	s_or_b32 exec_lo, exec_lo, s21
	v_lshlrev_b32_e32 v119, 16, v54
	s_delay_alu instid0(VALU_DEP_2) | instskip(NEXT) | instid1(VALU_DEP_3)
	v_lshlrev_b32_e32 v118, 20, v118
	v_lshl_add_u32 v3, v3, 23, 0x3c000000
	s_delay_alu instid0(VALU_DEP_3) | instskip(NEXT) | instid1(VALU_DEP_1)
	v_and_b32_e32 v119, 0x80000000, v119
	v_or3_b32 v41, v118, v119, v3
.LBB4_662:                              ;   in Loop: Header=BB4_569 Depth=2
	s_or_b32 exec_lo, exec_lo, s20
.LBB4_663:                              ;   in Loop: Header=BB4_569 Depth=2
	s_delay_alu instid0(SALU_CYCLE_1)
	s_or_b32 exec_lo, exec_lo, s19
.LBB4_664:                              ;   in Loop: Header=BB4_569 Depth=2
	s_delay_alu instid0(SALU_CYCLE_1) | instskip(NEXT) | instid1(VALU_DEP_1)
	s_or_b32 exec_lo, exec_lo, s18
	v_dual_max_num_f32 v3, v41, v41 :: v_dual_max_num_f32 v118, v40, v40
	s_delay_alu instid0(VALU_DEP_1)
	v_min_num_f32_e32 v118, v118, v3
.LBB4_665:                              ;   in Loop: Header=BB4_569 Depth=2
	s_or_b32 exec_lo, exec_lo, s8
	s_delay_alu instid0(VALU_DEP_1) | instskip(SKIP_2) | instid1(VALU_DEP_1)
	v_and_b32_e32 v40, 0x7f800000, v118
	v_dual_mov_b32 v41, v55 :: v_dual_lshrrev_b32 v3, 24, v118
                                        ; implicit-def: $vgpr43
	s_mov_b32 s8, exec_lo
	v_cmpx_ne_u64_e32 0x7f800000, v[40:41]
	s_xor_b32 s18, exec_lo, s8
	s_cbranch_execz .LBB4_679
; %bb.666:                              ;   in Loop: Header=BB4_569 Depth=2
	v_and_b32_e32 v40, 0x7fffffff, v118
	v_mov_b32_e32 v41, v55
	v_and_b32_e32 v3, 0x80, v3
                                        ; implicit-def: $vgpr43
	s_mov_b32 s8, exec_lo
	s_delay_alu instid0(VALU_DEP_2)
	v_cmpx_gt_u64_e32 0x43e00001, v[40:41]
	s_xor_b32 s19, exec_lo, s8
	s_cbranch_execz .LBB4_676
; %bb.667:                              ;   in Loop: Header=BB4_569 Depth=2
	v_mov_b32_e32 v43, 0
	s_mov_b32 s20, exec_lo
	v_cmpx_ne_u32_e32 0, v118
	s_cbranch_execz .LBB4_675
; %bb.668:                              ;   in Loop: Header=BB4_569 Depth=2
	v_bfe_u32 v43, v118, 23, 8
	v_and_b32_e32 v40, 0x7fffff, v118
	s_mov_b32 s21, exec_lo
	s_delay_alu instid0(VALU_DEP_2) | instskip(NEXT) | instid1(VALU_DEP_2)
	v_cmp_gt_u32_e32 vcc_lo, 0x7a, v43
	v_or_b32_e32 v41, 0x800000, v40
	v_sub_nc_u32_e32 v119, 0x79, v43
	s_delay_alu instid0(VALU_DEP_1) | instskip(SKIP_1) | instid1(VALU_DEP_2)
	v_cndmask_b32_e32 v119, 0, v119, vcc_lo
	v_cmp_eq_u32_e32 vcc_lo, 0, v43
	v_cndmask_b32_e64 v46, v119, 0x78, vcc_lo
	v_dual_cndmask_b32 v40, v41, v40 :: v_dual_mov_b32 v41, v55
	s_delay_alu instid0(VALU_DEP_2) | instskip(NEXT) | instid1(VALU_DEP_1)
	v_dual_add_nc_u32 v47, 19, v46 :: v_dual_add_nc_u32 v118, 20, v46
	v_lshlrev_b64_e64 v[58:59], v47, 1
	s_delay_alu instid0(VALU_DEP_2) | instskip(NEXT) | instid1(VALU_DEP_1)
	v_lshlrev_b64_e64 v[118:119], v118, -1
	v_bfi_b32 v61, v119, 0, 0
	s_delay_alu instid0(VALU_DEP_2) | instskip(SKIP_1) | instid1(VALU_DEP_1)
	v_bfi_b32 v60, v118, 0, v40
	v_lshrrev_b64 v[118:119], v46, v[40:41]
	v_mov_b64_e32 v[40:41], v[118:119]
	s_delay_alu instid0(VALU_DEP_3)
	v_cmpx_eq_u64_e64 v[60:61], v[58:59]
; %bb.669:                              ;   in Loop: Header=BB4_569 Depth=2
	v_bfe_u32 v40, v118, 20, 1
	v_mov_b32_e32 v41, v55
	s_delay_alu instid0(VALU_DEP_1) | instskip(NEXT) | instid1(VALU_DEP_1)
	v_add_nc_u64_e32 v[40:41], v[118:119], v[40:41]
	v_add_nc_u64_e32 v[40:41], -1, v[40:41]
; %bb.670:                              ;   in Loop: Header=BB4_569 Depth=2
	s_or_b32 exec_lo, exec_lo, s21
	v_add_nc_u32_e32 v119, 0xffffff81, v43
	v_lshrrev_b32_e32 v41, 23, v118
	s_mov_b32 s8, exec_lo
	s_delay_alu instid0(VALU_DEP_2) | instskip(NEXT) | instid1(VALU_DEP_1)
	v_cndmask_b32_e64 v119, v119, 0xffffff82, vcc_lo
	v_add3_u32 v41, v46, v119, v41
	v_and_b32_e32 v119, 0xfffff, v40
                                        ; implicit-def: $vgpr40
	s_delay_alu instid0(VALU_DEP_1) | instskip(SKIP_1) | instid1(VALU_DEP_2)
	v_dual_add_nc_u32 v43, 6, v41 :: v_dual_add_nc_u32 v118, v119, v118
	v_mov_b32_e32 v119, v55
	v_cmpx_ne_u32_e32 0, v43
	s_xor_b32 s8, exec_lo, s8
; %bb.671:                              ;   in Loop: Header=BB4_569 Depth=2
	s_delay_alu instid0(VALU_DEP_2) | instskip(SKIP_2) | instid1(VALU_DEP_2)
	v_cmp_lt_u64_e32 vcc_lo, 0xffffff, v[118:119]
	v_add_nc_u32_e32 v40, 7, v41
	v_cndmask_b32_e64 v41, 0, 1, vcc_lo
	v_cndmask_b32_e32 v40, v43, v40, vcc_lo
	s_delay_alu instid0(VALU_DEP_2)
	v_lshrrev_b64 v[118:119], v41, v[118:119]
; %bb.672:                              ;   in Loop: Header=BB4_569 Depth=2
	s_and_not1_saveexec_b32 s8, s8
; %bb.673:                              ;   in Loop: Header=BB4_569 Depth=2
	s_delay_alu instid0(VALU_DEP_1)
	v_bfe_u32 v40, v118, 23, 1
; %bb.674:                              ;   in Loop: Header=BB4_569 Depth=2
	s_or_b32 exec_lo, exec_lo, s8
	s_delay_alu instid0(VALU_DEP_2) | instskip(NEXT) | instid1(VALU_DEP_2)
	v_lshrrev_b64 v[118:119], 20, v[118:119]
	v_cmp_gt_i32_e32 vcc_lo, 16, v40
	v_min_i32_e32 v41, 15, v40
	v_cmp_eq_u32_e64 s8, 0, v40
	s_delay_alu instid0(VALU_DEP_2) | instskip(SKIP_1) | instid1(VALU_DEP_2)
	v_dual_cndmask_b32 v119, 0, v119, vcc_lo :: v_dual_lshlrev_b32 v41, 3, v41
	v_cndmask_b32_e32 v118, 7, v118, vcc_lo
	v_and_b32_e32 v41, 0xf8, v41
	s_delay_alu instid0(VALU_DEP_2) | instskip(NEXT) | instid1(VALU_DEP_2)
	v_cmp_eq_u64_e32 vcc_lo, 0, v[118:119]
	v_and_or_b32 v118, v118, 7, v41
	s_and_b32 s8, s8, vcc_lo
	s_delay_alu instid0(VALU_DEP_1) | instid1(SALU_CYCLE_1)
	v_cndmask_b32_e64 v118, v118, 0, s8
	s_delay_alu instid0(VALU_DEP_1)
	v_or_b32_e32 v43, v118, v3
.LBB4_675:                              ;   in Loop: Header=BB4_569 Depth=2
	s_or_b32 exec_lo, exec_lo, s20
                                        ; implicit-def: $vgpr3
.LBB4_676:                              ;   in Loop: Header=BB4_569 Depth=2
	s_and_not1_saveexec_b32 s8, s19
; %bb.677:                              ;   in Loop: Header=BB4_569 Depth=2
	v_or_b32_e32 v43, 0x7e, v3
; %bb.678:                              ;   in Loop: Header=BB4_569 Depth=2
	s_or_b32 exec_lo, exec_lo, s8
                                        ; implicit-def: $vgpr3
.LBB4_679:                              ;   in Loop: Header=BB4_569 Depth=2
	s_and_not1_saveexec_b32 s8, s18
; %bb.680:                              ;   in Loop: Header=BB4_569 Depth=2
	v_or_b32_e32 v43, 0x7f, v3
; %bb.681:                              ;   in Loop: Header=BB4_569 Depth=2
	s_or_b32 exec_lo, exec_lo, s8
	v_lshrrev_b32_e32 v40, 16, v2
	v_lshrrev_b32_e32 v3, 16, v54
                                        ; implicit-def: $vgpr118
	s_delay_alu instid0(VALU_DEP_2) | instskip(NEXT) | instid1(VALU_DEP_1)
	v_and_b32_e32 v119, 0xff, v40
	v_cmp_ne_u16_e32 vcc_lo, 0, v119
	s_and_saveexec_b32 s8, s6
	s_delay_alu instid0(SALU_CYCLE_1)
	s_xor_b32 s18, exec_lo, s8
	s_cbranch_execz .LBB4_699
; %bb.682:                              ;   in Loop: Header=BB4_569 Depth=2
	v_dual_mov_b32 v46, 0 :: v_dual_mov_b32 v41, 0
	s_and_saveexec_b32 s19, vcc_lo
	s_cbranch_execz .LBB4_690
; %bb.683:                              ;   in Loop: Header=BB4_569 Depth=2
	v_bfrev_b32_e32 v41, 1
	s_mov_b32 s20, exec_lo
	v_cmpx_ne_u16_e32 0x80, v119
	s_cbranch_execz .LBB4_689
; %bb.684:                              ;   in Loop: Header=BB4_569 Depth=2
	v_bfe_u32 v47, v2, 16, 7
	v_mov_b32_e32 v41, 0x7f800001
	s_mov_b32 s21, exec_lo
	s_delay_alu instid0(VALU_DEP_2)
	v_cmpx_ne_u32_e32 0x7f, v47
	s_cbranch_execz .LBB4_688
; %bb.685:                              ;   in Loop: Header=BB4_569 Depth=2
	v_dual_mov_b32 v119, v55 :: v_dual_bitop2_b32 v118, 7, v40 bitop3:0x40
	v_lshrrev_b32_e32 v41, 3, v47
	s_mov_b32 s22, exec_lo
	v_cmpx_gt_u32_e32 8, v47
; %bb.686:                              ;   in Loop: Header=BB4_569 Depth=2
	s_delay_alu instid0(VALU_DEP_3) | instskip(NEXT) | instid1(VALU_DEP_1)
	v_clz_i32_u32_e32 v41, v118
	v_min_u32_e32 v41, 32, v41
	s_delay_alu instid0(VALU_DEP_1) | instskip(NEXT) | instid1(VALU_DEP_1)
	v_subrev_nc_u32_e32 v47, 28, v41
	v_lshlrev_b64_e32 v[118:119], v47, v[118:119]
	s_delay_alu instid0(VALU_DEP_1)
	v_dual_sub_nc_u32 v41, 29, v41 :: v_dual_bitop2_b32 v118, 7, v118 bitop3:0x40
; %bb.687:                              ;   in Loop: Header=BB4_569 Depth=2
	s_or_b32 exec_lo, exec_lo, s22
	s_delay_alu instid0(VALU_DEP_1) | instskip(NEXT) | instid1(VALU_DEP_2)
	v_dual_lshlrev_b32 v119, 24, v40 :: v_dual_lshlrev_b32 v118, 20, v118
	v_lshl_add_u32 v40, v41, 23, 0x3c000000
	s_delay_alu instid0(VALU_DEP_2) | instskip(NEXT) | instid1(VALU_DEP_1)
	v_and_b32_e32 v119, 0x80000000, v119
	v_or3_b32 v41, v118, v119, v40
.LBB4_688:                              ;   in Loop: Header=BB4_569 Depth=2
	s_or_b32 exec_lo, exec_lo, s21
.LBB4_689:                              ;   in Loop: Header=BB4_569 Depth=2
	s_delay_alu instid0(SALU_CYCLE_1)
	s_or_b32 exec_lo, exec_lo, s20
.LBB4_690:                              ;   in Loop: Header=BB4_569 Depth=2
	s_delay_alu instid0(SALU_CYCLE_1) | instskip(SKIP_2) | instid1(VALU_DEP_1)
	s_or_b32 exec_lo, exec_lo, s19
	v_and_b32_e32 v118, 0xff, v3
	s_mov_b32 s19, exec_lo
	v_cmpx_ne_u16_e32 0, v118
	s_cbranch_execz .LBB4_698
; %bb.691:                              ;   in Loop: Header=BB4_569 Depth=2
	v_bfrev_b32_e32 v46, 1
	s_mov_b32 s20, exec_lo
	v_cmpx_ne_u16_e32 0x80, v118
	s_cbranch_execz .LBB4_697
; %bb.692:                              ;   in Loop: Header=BB4_569 Depth=2
	v_bfe_u32 v47, v54, 16, 7
	v_mov_b32_e32 v46, 0x7f800001
	s_mov_b32 s21, exec_lo
	s_delay_alu instid0(VALU_DEP_2)
	v_cmpx_ne_u32_e32 0x7f, v47
	s_cbranch_execz .LBB4_696
; %bb.693:                              ;   in Loop: Header=BB4_569 Depth=2
	v_dual_mov_b32 v119, v55 :: v_dual_bitop2_b32 v118, 7, v3 bitop3:0x40
	v_lshrrev_b32_e32 v40, 3, v47
	s_mov_b32 s22, exec_lo
	v_cmpx_gt_u32_e32 8, v47
; %bb.694:                              ;   in Loop: Header=BB4_569 Depth=2
	s_delay_alu instid0(VALU_DEP_3) | instskip(NEXT) | instid1(VALU_DEP_1)
	v_clz_i32_u32_e32 v40, v118
	v_min_u32_e32 v40, 32, v40
	s_delay_alu instid0(VALU_DEP_1) | instskip(NEXT) | instid1(VALU_DEP_1)
	v_subrev_nc_u32_e32 v46, 28, v40
	v_lshlrev_b64_e32 v[118:119], v46, v[118:119]
	s_delay_alu instid0(VALU_DEP_1)
	v_dual_sub_nc_u32 v40, 29, v40 :: v_dual_bitop2_b32 v118, 7, v118 bitop3:0x40
; %bb.695:                              ;   in Loop: Header=BB4_569 Depth=2
	s_or_b32 exec_lo, exec_lo, s22
	s_delay_alu instid0(VALU_DEP_1) | instskip(NEXT) | instid1(VALU_DEP_2)
	v_dual_lshlrev_b32 v3, 24, v3 :: v_dual_lshlrev_b32 v118, 20, v118
	v_lshl_add_u32 v119, v40, 23, 0x3c000000
	s_delay_alu instid0(VALU_DEP_2) | instskip(NEXT) | instid1(VALU_DEP_1)
	v_and_b32_e32 v3, 0x80000000, v3
	v_or3_b32 v46, v118, v3, v119
.LBB4_696:                              ;   in Loop: Header=BB4_569 Depth=2
	s_or_b32 exec_lo, exec_lo, s21
.LBB4_697:                              ;   in Loop: Header=BB4_569 Depth=2
	s_delay_alu instid0(SALU_CYCLE_1)
	s_or_b32 exec_lo, exec_lo, s20
.LBB4_698:                              ;   in Loop: Header=BB4_569 Depth=2
	s_delay_alu instid0(SALU_CYCLE_1) | instskip(NEXT) | instid1(VALU_DEP_1)
	s_or_b32 exec_lo, exec_lo, s19
	v_dual_max_num_f32 v3, v46, v46 :: v_dual_max_num_f32 v118, v41, v41
                                        ; implicit-def: $vgpr119
                                        ; implicit-def: $vgpr40
	s_delay_alu instid0(VALU_DEP_1)
	v_max_num_f32_e32 v118, v118, v3
                                        ; implicit-def: $vgpr3
.LBB4_699:                              ;   in Loop: Header=BB4_569 Depth=2
	s_and_not1_saveexec_b32 s8, s18
	s_cbranch_execz .LBB4_717
; %bb.700:                              ;   in Loop: Header=BB4_569 Depth=2
	v_dual_mov_b32 v46, 0 :: v_dual_mov_b32 v41, 0
	s_and_saveexec_b32 s18, vcc_lo
	s_cbranch_execz .LBB4_708
; %bb.701:                              ;   in Loop: Header=BB4_569 Depth=2
	v_bfrev_b32_e32 v41, 1
	s_mov_b32 s19, exec_lo
	v_cmpx_ne_u16_e32 0x80, v119
	s_cbranch_execz .LBB4_707
; %bb.702:                              ;   in Loop: Header=BB4_569 Depth=2
	v_bfe_u32 v47, v2, 16, 7
	v_mov_b32_e32 v41, 0x7f800001
	s_mov_b32 s20, exec_lo
	s_delay_alu instid0(VALU_DEP_2)
	v_cmpx_ne_u32_e32 0x7f, v47
	s_cbranch_execz .LBB4_706
; %bb.703:                              ;   in Loop: Header=BB4_569 Depth=2
	v_dual_mov_b32 v119, v55 :: v_dual_bitop2_b32 v118, 7, v40 bitop3:0x40
	v_lshrrev_b32_e32 v41, 3, v47
	s_mov_b32 s21, exec_lo
	v_cmpx_gt_u32_e32 8, v47
; %bb.704:                              ;   in Loop: Header=BB4_569 Depth=2
	s_delay_alu instid0(VALU_DEP_3) | instskip(NEXT) | instid1(VALU_DEP_1)
	v_clz_i32_u32_e32 v41, v118
	v_min_u32_e32 v41, 32, v41
	s_delay_alu instid0(VALU_DEP_1) | instskip(NEXT) | instid1(VALU_DEP_1)
	v_subrev_nc_u32_e32 v47, 28, v41
	v_lshlrev_b64_e32 v[118:119], v47, v[118:119]
	s_delay_alu instid0(VALU_DEP_1)
	v_dual_sub_nc_u32 v41, 29, v41 :: v_dual_bitop2_b32 v118, 7, v118 bitop3:0x40
; %bb.705:                              ;   in Loop: Header=BB4_569 Depth=2
	s_or_b32 exec_lo, exec_lo, s21
	s_delay_alu instid0(VALU_DEP_1) | instskip(NEXT) | instid1(VALU_DEP_2)
	v_dual_lshlrev_b32 v119, 24, v40 :: v_dual_lshlrev_b32 v118, 20, v118
	v_lshl_add_u32 v40, v41, 23, 0x3c000000
	s_delay_alu instid0(VALU_DEP_2) | instskip(NEXT) | instid1(VALU_DEP_1)
	v_and_b32_e32 v119, 0x80000000, v119
	v_or3_b32 v41, v118, v119, v40
.LBB4_706:                              ;   in Loop: Header=BB4_569 Depth=2
	s_or_b32 exec_lo, exec_lo, s20
.LBB4_707:                              ;   in Loop: Header=BB4_569 Depth=2
	s_delay_alu instid0(SALU_CYCLE_1)
	s_or_b32 exec_lo, exec_lo, s19
.LBB4_708:                              ;   in Loop: Header=BB4_569 Depth=2
	s_delay_alu instid0(SALU_CYCLE_1) | instskip(SKIP_2) | instid1(VALU_DEP_1)
	s_or_b32 exec_lo, exec_lo, s18
	v_and_b32_e32 v118, 0xff, v3
	s_mov_b32 s18, exec_lo
	v_cmpx_ne_u16_e32 0, v118
	s_cbranch_execz .LBB4_716
; %bb.709:                              ;   in Loop: Header=BB4_569 Depth=2
	v_bfrev_b32_e32 v46, 1
	s_mov_b32 s19, exec_lo
	v_cmpx_ne_u16_e32 0x80, v118
	s_cbranch_execz .LBB4_715
; %bb.710:                              ;   in Loop: Header=BB4_569 Depth=2
	v_bfe_u32 v47, v54, 16, 7
	v_mov_b32_e32 v46, 0x7f800001
	s_mov_b32 s20, exec_lo
	s_delay_alu instid0(VALU_DEP_2)
	v_cmpx_ne_u32_e32 0x7f, v47
	s_cbranch_execz .LBB4_714
; %bb.711:                              ;   in Loop: Header=BB4_569 Depth=2
	v_dual_mov_b32 v119, v55 :: v_dual_bitop2_b32 v118, 7, v3 bitop3:0x40
	v_lshrrev_b32_e32 v40, 3, v47
	s_mov_b32 s21, exec_lo
	v_cmpx_gt_u32_e32 8, v47
; %bb.712:                              ;   in Loop: Header=BB4_569 Depth=2
	s_delay_alu instid0(VALU_DEP_3) | instskip(NEXT) | instid1(VALU_DEP_1)
	v_clz_i32_u32_e32 v40, v118
	v_min_u32_e32 v40, 32, v40
	s_delay_alu instid0(VALU_DEP_1) | instskip(NEXT) | instid1(VALU_DEP_1)
	v_subrev_nc_u32_e32 v46, 28, v40
	v_lshlrev_b64_e32 v[118:119], v46, v[118:119]
	s_delay_alu instid0(VALU_DEP_1)
	v_dual_sub_nc_u32 v40, 29, v40 :: v_dual_bitop2_b32 v118, 7, v118 bitop3:0x40
; %bb.713:                              ;   in Loop: Header=BB4_569 Depth=2
	s_or_b32 exec_lo, exec_lo, s21
	s_delay_alu instid0(VALU_DEP_1) | instskip(NEXT) | instid1(VALU_DEP_2)
	v_dual_lshlrev_b32 v3, 24, v3 :: v_dual_lshlrev_b32 v118, 20, v118
	v_lshl_add_u32 v119, v40, 23, 0x3c000000
	s_delay_alu instid0(VALU_DEP_2) | instskip(NEXT) | instid1(VALU_DEP_1)
	v_and_b32_e32 v3, 0x80000000, v3
	v_or3_b32 v46, v118, v3, v119
.LBB4_714:                              ;   in Loop: Header=BB4_569 Depth=2
	s_or_b32 exec_lo, exec_lo, s20
.LBB4_715:                              ;   in Loop: Header=BB4_569 Depth=2
	s_delay_alu instid0(SALU_CYCLE_1)
	s_or_b32 exec_lo, exec_lo, s19
.LBB4_716:                              ;   in Loop: Header=BB4_569 Depth=2
	s_delay_alu instid0(SALU_CYCLE_1) | instskip(NEXT) | instid1(VALU_DEP_1)
	s_or_b32 exec_lo, exec_lo, s18
	v_dual_max_num_f32 v3, v46, v46 :: v_dual_max_num_f32 v118, v41, v41
	s_delay_alu instid0(VALU_DEP_1)
	v_min_num_f32_e32 v118, v118, v3
.LBB4_717:                              ;   in Loop: Header=BB4_569 Depth=2
	s_or_b32 exec_lo, exec_lo, s8
	s_delay_alu instid0(VALU_DEP_1) | instskip(SKIP_1) | instid1(VALU_DEP_1)
	v_and_b32_e32 v40, 0x7f800000, v118
	v_dual_mov_b32 v41, v55 :: v_dual_lshrrev_b32 v3, 24, v118
	v_cmp_ne_u64_e32 vcc_lo, 0x7f800000, v[40:41]
                                        ; implicit-def: $vgpr40
	s_and_saveexec_b32 s8, vcc_lo
	s_delay_alu instid0(SALU_CYCLE_1)
	s_xor_b32 s18, exec_lo, s8
	s_cbranch_execz .LBB4_731
; %bb.718:                              ;   in Loop: Header=BB4_569 Depth=2
	v_and_b32_e32 v40, 0x7fffffff, v118
	v_mov_b32_e32 v41, v55
	v_and_b32_e32 v3, 0x80, v3
	s_delay_alu instid0(VALU_DEP_2) | instskip(SKIP_1) | instid1(SALU_CYCLE_1)
	v_cmp_gt_u64_e32 vcc_lo, 0x43e00001, v[40:41]
                                        ; implicit-def: $vgpr40
	s_and_saveexec_b32 s8, vcc_lo
	s_xor_b32 s19, exec_lo, s8
	s_cbranch_execz .LBB4_728
; %bb.719:                              ;   in Loop: Header=BB4_569 Depth=2
	v_mov_b32_e32 v40, 0
	s_mov_b32 s20, exec_lo
	v_cmpx_ne_u32_e32 0, v118
	s_cbranch_execz .LBB4_727
; %bb.720:                              ;   in Loop: Header=BB4_569 Depth=2
	v_bfe_u32 v46, v118, 23, 8
	v_and_b32_e32 v40, 0x7fffff, v118
	s_mov_b32 s21, exec_lo
	s_delay_alu instid0(VALU_DEP_2) | instskip(NEXT) | instid1(VALU_DEP_2)
	v_cmp_gt_u32_e32 vcc_lo, 0x7a, v46
	v_or_b32_e32 v41, 0x800000, v40
	v_sub_nc_u32_e32 v119, 0x79, v46
	s_delay_alu instid0(VALU_DEP_1) | instskip(SKIP_1) | instid1(VALU_DEP_4)
	v_cndmask_b32_e32 v119, 0, v119, vcc_lo
	v_cmp_eq_u32_e32 vcc_lo, 0, v46
	v_dual_cndmask_b32 v40, v41, v40 :: v_dual_mov_b32 v41, v55
	s_delay_alu instid0(VALU_DEP_3) | instskip(NEXT) | instid1(VALU_DEP_1)
	v_cndmask_b32_e64 v47, v119, 0x78, vcc_lo
	v_dual_add_nc_u32 v118, 20, v47 :: v_dual_add_nc_u32 v58, 19, v47
	s_delay_alu instid0(VALU_DEP_1) | instskip(NEXT) | instid1(VALU_DEP_2)
	v_lshlrev_b64_e64 v[118:119], v118, -1
	v_lshlrev_b64_e64 v[58:59], v58, 1
	s_delay_alu instid0(VALU_DEP_2) | instskip(NEXT) | instid1(VALU_DEP_3)
	v_bfi_b32 v61, v119, 0, 0
	v_bfi_b32 v60, v118, 0, v40
	v_lshrrev_b64 v[118:119], v47, v[40:41]
	s_delay_alu instid0(VALU_DEP_1) | instskip(NEXT) | instid1(VALU_DEP_3)
	v_mov_b64_e32 v[40:41], v[118:119]
	v_cmpx_eq_u64_e64 v[60:61], v[58:59]
; %bb.721:                              ;   in Loop: Header=BB4_569 Depth=2
	v_bfe_u32 v40, v118, 20, 1
	v_mov_b32_e32 v41, v55
	s_delay_alu instid0(VALU_DEP_1) | instskip(NEXT) | instid1(VALU_DEP_1)
	v_add_nc_u64_e32 v[40:41], v[118:119], v[40:41]
	v_add_nc_u64_e32 v[40:41], -1, v[40:41]
; %bb.722:                              ;   in Loop: Header=BB4_569 Depth=2
	s_or_b32 exec_lo, exec_lo, s21
	v_add_nc_u32_e32 v119, 0xffffff81, v46
	v_lshrrev_b32_e32 v41, 23, v118
	s_mov_b32 s8, exec_lo
	s_delay_alu instid0(VALU_DEP_2) | instskip(NEXT) | instid1(VALU_DEP_1)
	v_cndmask_b32_e64 v119, v119, 0xffffff82, vcc_lo
	v_add3_u32 v41, v47, v119, v41
	v_and_b32_e32 v119, 0xfffff, v40
                                        ; implicit-def: $vgpr40
	s_delay_alu instid0(VALU_DEP_1) | instskip(SKIP_1) | instid1(VALU_DEP_2)
	v_dual_add_nc_u32 v46, 6, v41 :: v_dual_add_nc_u32 v118, v119, v118
	v_mov_b32_e32 v119, v55
	v_cmpx_ne_u32_e32 0, v46
	s_xor_b32 s8, exec_lo, s8
; %bb.723:                              ;   in Loop: Header=BB4_569 Depth=2
	s_delay_alu instid0(VALU_DEP_2) | instskip(SKIP_2) | instid1(VALU_DEP_2)
	v_cmp_lt_u64_e32 vcc_lo, 0xffffff, v[118:119]
	v_add_nc_u32_e32 v40, 7, v41
	v_cndmask_b32_e64 v41, 0, 1, vcc_lo
	v_cndmask_b32_e32 v40, v46, v40, vcc_lo
	s_delay_alu instid0(VALU_DEP_2)
	v_lshrrev_b64 v[118:119], v41, v[118:119]
; %bb.724:                              ;   in Loop: Header=BB4_569 Depth=2
	s_and_not1_saveexec_b32 s8, s8
; %bb.725:                              ;   in Loop: Header=BB4_569 Depth=2
	s_delay_alu instid0(VALU_DEP_1)
	v_bfe_u32 v40, v118, 23, 1
; %bb.726:                              ;   in Loop: Header=BB4_569 Depth=2
	s_or_b32 exec_lo, exec_lo, s8
	s_delay_alu instid0(VALU_DEP_2) | instskip(NEXT) | instid1(VALU_DEP_2)
	v_lshrrev_b64 v[118:119], 20, v[118:119]
	v_cmp_gt_i32_e32 vcc_lo, 16, v40
	v_min_i32_e32 v41, 15, v40
	v_cmp_eq_u32_e64 s8, 0, v40
	s_delay_alu instid0(VALU_DEP_2) | instskip(SKIP_1) | instid1(VALU_DEP_2)
	v_dual_cndmask_b32 v119, 0, v119, vcc_lo :: v_dual_lshlrev_b32 v41, 3, v41
	v_cndmask_b32_e32 v118, 7, v118, vcc_lo
	v_and_b32_e32 v41, 0xf8, v41
	s_delay_alu instid0(VALU_DEP_2) | instskip(NEXT) | instid1(VALU_DEP_2)
	v_cmp_eq_u64_e32 vcc_lo, 0, v[118:119]
	v_and_or_b32 v118, v118, 7, v41
	s_and_b32 s8, s8, vcc_lo
	s_delay_alu instid0(VALU_DEP_1) | instid1(SALU_CYCLE_1)
	v_cndmask_b32_e64 v118, v118, 0, s8
	s_delay_alu instid0(VALU_DEP_1)
	v_or_b32_e32 v40, v118, v3
.LBB4_727:                              ;   in Loop: Header=BB4_569 Depth=2
	s_or_b32 exec_lo, exec_lo, s20
                                        ; implicit-def: $vgpr3
.LBB4_728:                              ;   in Loop: Header=BB4_569 Depth=2
	s_and_not1_saveexec_b32 s8, s19
; %bb.729:                              ;   in Loop: Header=BB4_569 Depth=2
	v_or_b32_e32 v40, 0x7e, v3
; %bb.730:                              ;   in Loop: Header=BB4_569 Depth=2
	s_or_b32 exec_lo, exec_lo, s8
                                        ; implicit-def: $vgpr3
.LBB4_731:                              ;   in Loop: Header=BB4_569 Depth=2
	s_and_not1_saveexec_b32 s8, s18
; %bb.732:                              ;   in Loop: Header=BB4_569 Depth=2
	v_or_b32_e32 v40, 0x7f, v3
; %bb.733:                              ;   in Loop: Header=BB4_569 Depth=2
	s_or_b32 exec_lo, exec_lo, s8
	v_lshrrev_b32_e32 v119, 24, v2
	v_lshrrev_b32_e32 v118, 24, v54
	v_cmp_lt_u32_e32 vcc_lo, 0xffffff, v2
                                        ; implicit-def: $vgpr3
	s_and_saveexec_b32 s8, s6
	s_delay_alu instid0(SALU_CYCLE_1)
	s_xor_b32 s18, exec_lo, s8
	s_cbranch_execz .LBB4_751
; %bb.734:                              ;   in Loop: Header=BB4_569 Depth=2
	v_dual_mov_b32 v41, 0 :: v_dual_mov_b32 v3, 0
	s_and_saveexec_b32 s19, vcc_lo
	s_cbranch_execz .LBB4_742
; %bb.735:                              ;   in Loop: Header=BB4_569 Depth=2
	v_bfrev_b32_e32 v3, 1
	s_mov_b32 s20, exec_lo
	v_cmpx_ne_u32_e32 0x80, v119
	s_cbranch_execz .LBB4_741
; %bb.736:                              ;   in Loop: Header=BB4_569 Depth=2
	v_bfe_u32 v47, v2, 24, 7
	v_mov_b32_e32 v3, 0x7f800001
	s_mov_b32 s21, exec_lo
	s_delay_alu instid0(VALU_DEP_2)
	v_cmpx_ne_u32_e32 0x7f, v47
	s_cbranch_execz .LBB4_740
; %bb.737:                              ;   in Loop: Header=BB4_569 Depth=2
	v_dual_mov_b32 v3, v55 :: v_dual_bitop2_b32 v2, 7, v119 bitop3:0x40
	v_lshrrev_b32_e32 v46, 3, v47
	s_mov_b32 s22, exec_lo
	v_cmpx_gt_u32_e32 8, v47
; %bb.738:                              ;   in Loop: Header=BB4_569 Depth=2
	s_delay_alu instid0(VALU_DEP_3) | instskip(NEXT) | instid1(VALU_DEP_1)
	v_clz_i32_u32_e32 v46, v2
	v_min_u32_e32 v46, 32, v46
	s_delay_alu instid0(VALU_DEP_1) | instskip(SKIP_1) | instid1(VALU_DEP_2)
	v_subrev_nc_u32_e32 v47, 28, v46
	v_sub_nc_u32_e32 v46, 29, v46
	v_lshlrev_b64_e32 v[2:3], v47, v[2:3]
	s_delay_alu instid0(VALU_DEP_1)
	v_and_b32_e32 v2, 7, v2
; %bb.739:                              ;   in Loop: Header=BB4_569 Depth=2
	s_or_b32 exec_lo, exec_lo, s22
	s_delay_alu instid0(VALU_DEP_1) | instskip(SKIP_1) | instid1(VALU_DEP_2)
	v_dual_lshlrev_b32 v3, 24, v119 :: v_dual_lshlrev_b32 v2, 20, v2
	v_lshl_add_u32 v119, v46, 23, 0x3c000000
	v_and_b32_e32 v3, 0x80000000, v3
	s_delay_alu instid0(VALU_DEP_1)
	v_or3_b32 v3, v2, v3, v119
.LBB4_740:                              ;   in Loop: Header=BB4_569 Depth=2
	s_or_b32 exec_lo, exec_lo, s21
.LBB4_741:                              ;   in Loop: Header=BB4_569 Depth=2
	s_delay_alu instid0(SALU_CYCLE_1)
	s_or_b32 exec_lo, exec_lo, s20
.LBB4_742:                              ;   in Loop: Header=BB4_569 Depth=2
	s_delay_alu instid0(SALU_CYCLE_1) | instskip(NEXT) | instid1(SALU_CYCLE_1)
	s_or_b32 exec_lo, exec_lo, s19
	s_mov_b32 s19, exec_lo
	v_cmpx_lt_u32_e32 0xffffff, v54
	s_cbranch_execz .LBB4_750
; %bb.743:                              ;   in Loop: Header=BB4_569 Depth=2
	v_bfrev_b32_e32 v41, 1
	s_mov_b32 s20, exec_lo
	v_cmpx_ne_u32_e32 0x80, v118
	s_cbranch_execz .LBB4_749
; %bb.744:                              ;   in Loop: Header=BB4_569 Depth=2
	v_bfe_u32 v119, v54, 24, 7
	v_mov_b32_e32 v41, 0x7f800001
	s_mov_b32 s21, exec_lo
	s_delay_alu instid0(VALU_DEP_2)
	v_cmpx_ne_u32_e32 0x7f, v119
	s_cbranch_execz .LBB4_748
; %bb.745:                              ;   in Loop: Header=BB4_569 Depth=2
	v_dual_lshrrev_b32 v2, 3, v119 :: v_dual_bitop2_b32 v54, 7, v118 bitop3:0x40
	s_mov_b32 s22, exec_lo
	v_cmpx_gt_u32_e32 8, v119
; %bb.746:                              ;   in Loop: Header=BB4_569 Depth=2
	s_delay_alu instid0(VALU_DEP_2) | instskip(NEXT) | instid1(VALU_DEP_1)
	v_clz_i32_u32_e32 v2, v54
	v_min_u32_e32 v2, 32, v2
	s_delay_alu instid0(VALU_DEP_1) | instskip(SKIP_1) | instid1(VALU_DEP_2)
	v_subrev_nc_u32_e32 v119, 28, v2
	v_sub_nc_u32_e32 v2, 29, v2
	v_lshlrev_b64_e32 v[46:47], v119, v[54:55]
	s_delay_alu instid0(VALU_DEP_1)
	v_and_b32_e32 v54, 7, v46
; %bb.747:                              ;   in Loop: Header=BB4_569 Depth=2
	s_or_b32 exec_lo, exec_lo, s22
	v_lshlrev_b32_e32 v118, 24, v118
	s_delay_alu instid0(VALU_DEP_2) | instskip(SKIP_1) | instid1(VALU_DEP_3)
	v_lshlrev_b32_e32 v54, 20, v54
	v_lshl_add_u32 v2, v2, 23, 0x3c000000
	v_and_b32_e32 v118, 0x80000000, v118
	s_delay_alu instid0(VALU_DEP_1)
	v_or3_b32 v41, v54, v118, v2
.LBB4_748:                              ;   in Loop: Header=BB4_569 Depth=2
	s_or_b32 exec_lo, exec_lo, s21
.LBB4_749:                              ;   in Loop: Header=BB4_569 Depth=2
	s_delay_alu instid0(SALU_CYCLE_1)
	s_or_b32 exec_lo, exec_lo, s20
.LBB4_750:                              ;   in Loop: Header=BB4_569 Depth=2
	s_delay_alu instid0(SALU_CYCLE_1) | instskip(NEXT) | instid1(VALU_DEP_1)
	s_or_b32 exec_lo, exec_lo, s19
	v_dual_max_num_f32 v2, v41, v41 :: v_dual_max_num_f32 v3, v3, v3
                                        ; implicit-def: $vgpr118
                                        ; implicit-def: $vgpr119
	s_delay_alu instid0(VALU_DEP_1)
	v_max_num_f32_e32 v3, v3, v2
.LBB4_751:                              ;   in Loop: Header=BB4_569 Depth=2
	s_and_not1_saveexec_b32 s8, s18
	s_cbranch_execz .LBB4_769
; %bb.752:                              ;   in Loop: Header=BB4_569 Depth=2
	v_dual_mov_b32 v41, 0 :: v_dual_mov_b32 v3, 0
	s_and_saveexec_b32 s18, vcc_lo
	s_cbranch_execz .LBB4_760
; %bb.753:                              ;   in Loop: Header=BB4_569 Depth=2
	v_bfrev_b32_e32 v3, 1
	s_mov_b32 s19, exec_lo
	v_cmpx_ne_u32_e32 0x80, v119
	s_cbranch_execz .LBB4_759
; %bb.754:                              ;   in Loop: Header=BB4_569 Depth=2
	v_bfe_u32 v47, v2, 24, 7
	v_mov_b32_e32 v3, 0x7f800001
	s_mov_b32 s20, exec_lo
	s_delay_alu instid0(VALU_DEP_2)
	v_cmpx_ne_u32_e32 0x7f, v47
	s_cbranch_execz .LBB4_758
; %bb.755:                              ;   in Loop: Header=BB4_569 Depth=2
	v_dual_mov_b32 v3, v55 :: v_dual_bitop2_b32 v2, 7, v119 bitop3:0x40
	v_lshrrev_b32_e32 v46, 3, v47
	s_mov_b32 s21, exec_lo
	v_cmpx_gt_u32_e32 8, v47
; %bb.756:                              ;   in Loop: Header=BB4_569 Depth=2
	s_delay_alu instid0(VALU_DEP_3) | instskip(NEXT) | instid1(VALU_DEP_1)
	v_clz_i32_u32_e32 v46, v2
	v_min_u32_e32 v46, 32, v46
	s_delay_alu instid0(VALU_DEP_1) | instskip(SKIP_1) | instid1(VALU_DEP_2)
	v_subrev_nc_u32_e32 v47, 28, v46
	v_sub_nc_u32_e32 v46, 29, v46
	v_lshlrev_b64_e32 v[2:3], v47, v[2:3]
	s_delay_alu instid0(VALU_DEP_1)
	v_and_b32_e32 v2, 7, v2
; %bb.757:                              ;   in Loop: Header=BB4_569 Depth=2
	s_or_b32 exec_lo, exec_lo, s21
	s_delay_alu instid0(VALU_DEP_1) | instskip(SKIP_1) | instid1(VALU_DEP_2)
	v_dual_lshlrev_b32 v3, 24, v119 :: v_dual_lshlrev_b32 v2, 20, v2
	v_lshl_add_u32 v119, v46, 23, 0x3c000000
	v_and_b32_e32 v3, 0x80000000, v3
	s_delay_alu instid0(VALU_DEP_1)
	v_or3_b32 v3, v2, v3, v119
.LBB4_758:                              ;   in Loop: Header=BB4_569 Depth=2
	s_or_b32 exec_lo, exec_lo, s20
.LBB4_759:                              ;   in Loop: Header=BB4_569 Depth=2
	s_delay_alu instid0(SALU_CYCLE_1)
	s_or_b32 exec_lo, exec_lo, s19
.LBB4_760:                              ;   in Loop: Header=BB4_569 Depth=2
	s_delay_alu instid0(SALU_CYCLE_1) | instskip(NEXT) | instid1(SALU_CYCLE_1)
	s_or_b32 exec_lo, exec_lo, s18
	s_mov_b32 s18, exec_lo
	v_cmpx_lt_u32_e32 0xffffff, v54
	s_cbranch_execz .LBB4_768
; %bb.761:                              ;   in Loop: Header=BB4_569 Depth=2
	v_bfrev_b32_e32 v41, 1
	s_mov_b32 s19, exec_lo
	v_cmpx_ne_u32_e32 0x80, v118
	s_cbranch_execz .LBB4_767
; %bb.762:                              ;   in Loop: Header=BB4_569 Depth=2
	v_bfe_u32 v119, v54, 24, 7
	v_mov_b32_e32 v41, 0x7f800001
	s_mov_b32 s20, exec_lo
	s_delay_alu instid0(VALU_DEP_2)
	v_cmpx_ne_u32_e32 0x7f, v119
	s_cbranch_execz .LBB4_766
; %bb.763:                              ;   in Loop: Header=BB4_569 Depth=2
	v_dual_lshrrev_b32 v2, 3, v119 :: v_dual_bitop2_b32 v54, 7, v118 bitop3:0x40
	s_mov_b32 s21, exec_lo
	v_cmpx_gt_u32_e32 8, v119
; %bb.764:                              ;   in Loop: Header=BB4_569 Depth=2
	s_delay_alu instid0(VALU_DEP_2) | instskip(NEXT) | instid1(VALU_DEP_1)
	v_clz_i32_u32_e32 v2, v54
	v_min_u32_e32 v2, 32, v2
	s_delay_alu instid0(VALU_DEP_1) | instskip(SKIP_1) | instid1(VALU_DEP_2)
	v_subrev_nc_u32_e32 v119, 28, v2
	v_sub_nc_u32_e32 v2, 29, v2
	v_lshlrev_b64_e32 v[46:47], v119, v[54:55]
	s_delay_alu instid0(VALU_DEP_1)
	v_and_b32_e32 v54, 7, v46
; %bb.765:                              ;   in Loop: Header=BB4_569 Depth=2
	s_or_b32 exec_lo, exec_lo, s21
	v_lshlrev_b32_e32 v118, 24, v118
	s_delay_alu instid0(VALU_DEP_2) | instskip(SKIP_1) | instid1(VALU_DEP_3)
	v_lshlrev_b32_e32 v54, 20, v54
	v_lshl_add_u32 v2, v2, 23, 0x3c000000
	v_and_b32_e32 v118, 0x80000000, v118
	s_delay_alu instid0(VALU_DEP_1)
	v_or3_b32 v41, v54, v118, v2
.LBB4_766:                              ;   in Loop: Header=BB4_569 Depth=2
	s_or_b32 exec_lo, exec_lo, s20
.LBB4_767:                              ;   in Loop: Header=BB4_569 Depth=2
	s_delay_alu instid0(SALU_CYCLE_1)
	s_or_b32 exec_lo, exec_lo, s19
.LBB4_768:                              ;   in Loop: Header=BB4_569 Depth=2
	s_delay_alu instid0(SALU_CYCLE_1) | instskip(NEXT) | instid1(VALU_DEP_1)
	s_or_b32 exec_lo, exec_lo, s18
	v_dual_max_num_f32 v2, v41, v41 :: v_dual_max_num_f32 v3, v3, v3
	s_delay_alu instid0(VALU_DEP_1)
	v_min_num_f32_e32 v3, v3, v2
.LBB4_769:                              ;   in Loop: Header=BB4_569 Depth=2
	s_or_b32 exec_lo, exec_lo, s8
	s_delay_alu instid0(VALU_DEP_1) | instskip(SKIP_2) | instid1(VALU_DEP_2)
	v_and_b32_e32 v54, 0x7f800000, v3
	v_lshrrev_b32_e32 v2, 24, v3
                                        ; implicit-def: $vgpr41
	s_mov_b32 s8, exec_lo
	v_cmpx_ne_u64_e32 0x7f800000, v[54:55]
	s_xor_b32 s18, exec_lo, s8
	s_cbranch_execz .LBB4_783
; %bb.770:                              ;   in Loop: Header=BB4_569 Depth=2
	v_and_b32_e32 v54, 0x7fffffff, v3
	v_and_b32_e32 v46, 0x80, v2
                                        ; implicit-def: $vgpr41
	s_mov_b32 s8, exec_lo
	s_delay_alu instid0(VALU_DEP_2)
	v_cmpx_gt_u64_e32 0x43e00001, v[54:55]
	s_xor_b32 s19, exec_lo, s8
	s_cbranch_execz .LBB4_780
; %bb.771:                              ;   in Loop: Header=BB4_569 Depth=2
	v_mov_b32_e32 v41, 0
	s_mov_b32 s20, exec_lo
	v_cmpx_ne_u32_e32 0, v3
	s_cbranch_execz .LBB4_779
; %bb.772:                              ;   in Loop: Header=BB4_569 Depth=2
	v_bfe_u32 v41, v3, 23, 8
	v_and_b32_e32 v54, 0x7fffff, v3
	s_delay_alu instid0(VALU_DEP_2) | instskip(SKIP_1) | instid1(VALU_DEP_3)
	v_sub_nc_u32_e32 v2, 0x79, v41
	v_cmp_gt_u32_e32 vcc_lo, 0x7a, v41
	v_or_b32_e32 v118, 0x800000, v54
	s_delay_alu instid0(VALU_DEP_3) | instskip(SKIP_1) | instid1(VALU_DEP_2)
	v_cndmask_b32_e32 v2, 0, v2, vcc_lo
	v_cmp_eq_u32_e32 vcc_lo, 0, v41
	v_cndmask_b32_e64 v47, v2, 0x78, vcc_lo
	s_delay_alu instid0(VALU_DEP_1) | instskip(SKIP_1) | instid1(VALU_DEP_2)
	v_dual_cndmask_b32 v54, v118, v54, vcc_lo :: v_dual_add_nc_u32 v2, 20, v47
	v_add_nc_u32_e32 v119, 19, v47
	v_lshlrev_b64_e64 v[2:3], v2, -1
	s_delay_alu instid0(VALU_DEP_2) | instskip(NEXT) | instid1(VALU_DEP_2)
	v_lshlrev_b64_e64 v[118:119], v119, 1
	v_bfi_b32 v59, v3, 0, 0
	s_delay_alu instid0(VALU_DEP_3) | instskip(SKIP_1) | instid1(VALU_DEP_2)
	v_bfi_b32 v58, v2, 0, v54
	v_lshrrev_b64 v[2:3], v47, v[54:55]
	v_cmp_eq_u64_e64 s8, v[58:59], v[118:119]
	s_delay_alu instid0(VALU_DEP_2)
	v_mov_b64_e32 v[118:119], v[2:3]
	s_and_saveexec_b32 s21, s8
; %bb.773:                              ;   in Loop: Header=BB4_569 Depth=2
	v_bfe_u32 v54, v2, 20, 1
	s_delay_alu instid0(VALU_DEP_1) | instskip(NEXT) | instid1(VALU_DEP_1)
	v_add_nc_u64_e32 v[118:119], v[2:3], v[54:55]
	v_add_nc_u64_e32 v[118:119], -1, v[118:119]
; %bb.774:                              ;   in Loop: Header=BB4_569 Depth=2
	s_or_b32 exec_lo, exec_lo, s21
	v_add_nc_u32_e32 v3, 0xffffff81, v41
	v_lshrrev_b32_e32 v54, 23, v2
	s_mov_b32 s8, exec_lo
	s_delay_alu instid0(VALU_DEP_2) | instskip(NEXT) | instid1(VALU_DEP_1)
	v_cndmask_b32_e64 v3, v3, 0xffffff82, vcc_lo
	v_add3_u32 v119, v47, v3, v54
	v_and_b32_e32 v3, 0xfffff, v118
                                        ; implicit-def: $vgpr118
	s_delay_alu instid0(VALU_DEP_1) | instskip(NEXT) | instid1(VALU_DEP_1)
	v_dual_add_nc_u32 v41, 6, v119 :: v_dual_add_nc_u32 v54, v3, v2
                                        ; implicit-def: $vgpr2_vgpr3
	v_cmpx_ne_u32_e32 0, v41
	s_xor_b32 s8, exec_lo, s8
; %bb.775:                              ;   in Loop: Header=BB4_569 Depth=2
	s_delay_alu instid0(VALU_DEP_2) | instskip(SKIP_1) | instid1(VALU_DEP_1)
	v_cmp_lt_u64_e32 vcc_lo, 0xffffff, v[54:55]
	v_add_nc_u32_e32 v2, 7, v119
	v_cndmask_b32_e32 v118, v41, v2, vcc_lo
	v_cndmask_b32_e64 v2, 0, 1, vcc_lo
	s_delay_alu instid0(VALU_DEP_1)
	v_lshrrev_b64 v[2:3], v2, v[54:55]
; %bb.776:                              ;   in Loop: Header=BB4_569 Depth=2
	s_and_not1_saveexec_b32 s8, s8
; %bb.777:                              ;   in Loop: Header=BB4_569 Depth=2
	v_mov_b64_e32 v[2:3], v[54:55]
	v_bfe_u32 v118, v54, 23, 1
; %bb.778:                              ;   in Loop: Header=BB4_569 Depth=2
	s_or_b32 exec_lo, exec_lo, s8
	s_delay_alu instid0(VALU_DEP_2) | instskip(NEXT) | instid1(VALU_DEP_2)
	v_lshrrev_b64 v[2:3], 20, v[2:3]
	v_cmp_gt_i32_e32 vcc_lo, 16, v118
	v_min_i32_e32 v54, 15, v118
	v_cmp_eq_u32_e64 s8, 0, v118
	s_delay_alu instid0(VALU_DEP_2) | instskip(SKIP_1) | instid1(VALU_DEP_2)
	v_dual_cndmask_b32 v3, 0, v3 :: v_dual_lshlrev_b32 v54, 3, v54
	v_cndmask_b32_e32 v2, 7, v2, vcc_lo
	v_and_b32_e32 v54, 0xf8, v54
	s_delay_alu instid0(VALU_DEP_2) | instskip(NEXT) | instid1(VALU_DEP_2)
	v_cmp_eq_u64_e32 vcc_lo, 0, v[2:3]
	v_and_or_b32 v2, v2, 7, v54
	s_and_b32 s8, s8, vcc_lo
	s_delay_alu instid0(VALU_DEP_1) | instid1(SALU_CYCLE_1)
	v_cndmask_b32_e64 v2, v2, 0, s8
	s_delay_alu instid0(VALU_DEP_1)
	v_or_b32_e32 v41, v2, v46
.LBB4_779:                              ;   in Loop: Header=BB4_569 Depth=2
	s_or_b32 exec_lo, exec_lo, s20
                                        ; implicit-def: $vgpr46
.LBB4_780:                              ;   in Loop: Header=BB4_569 Depth=2
	s_and_not1_saveexec_b32 s8, s19
; %bb.781:                              ;   in Loop: Header=BB4_569 Depth=2
	v_or_b32_e32 v41, 0x7e, v46
; %bb.782:                              ;   in Loop: Header=BB4_569 Depth=2
	s_or_b32 exec_lo, exec_lo, s8
                                        ; implicit-def: $vgpr2
.LBB4_783:                              ;   in Loop: Header=BB4_569 Depth=2
	s_and_not1_saveexec_b32 s8, s18
; %bb.784:                              ;   in Loop: Header=BB4_569 Depth=2
	v_or_b32_e32 v41, 0x7f, v2
; %bb.785:                              ;   in Loop: Header=BB4_569 Depth=2
	s_or_b32 exec_lo, exec_lo, s8
	v_and_b32_e32 v118, 0xff, v4
	v_alignbit_b32 v54, v44, v45, v5
	v_mov_b32_e32 v5, v55
                                        ; implicit-def: $vgpr2
	s_delay_alu instid0(VALU_DEP_3) | instskip(SKIP_1) | instid1(SALU_CYCLE_1)
	v_cmp_ne_u16_e32 vcc_lo, 0, v118
	s_and_saveexec_b32 s8, s6
	s_xor_b32 s18, exec_lo, s8
	s_cbranch_execz .LBB4_799
; %bb.786:                              ;   in Loop: Header=BB4_569 Depth=2
	v_dual_mov_b32 v3, 0 :: v_dual_mov_b32 v2, 0
	s_and_saveexec_b32 s19, vcc_lo
	s_cbranch_execz .LBB4_792
; %bb.787:                              ;   in Loop: Header=BB4_569 Depth=2
	v_bfrev_b32_e32 v2, 1
	s_mov_b32 s20, exec_lo
	v_cmpx_ne_u16_e32 0x80, v118
	s_cbranch_execz .LBB4_791
; %bb.788:                              ;   in Loop: Header=BB4_569 Depth=2
	v_and_b32_e32 v118, 0x7f, v4
	v_mov_b32_e32 v2, 0x7f800001
	s_mov_b32 s21, exec_lo
	s_delay_alu instid0(VALU_DEP_2)
	v_cmpx_ne_u32_e32 0x7f, v118
	s_cbranch_execz .LBB4_790
; %bb.789:                              ;   in Loop: Header=BB4_569 Depth=2
	v_dual_lshrrev_b32 v119, 3, v118 :: v_dual_bitop2_b32 v2, 7, v4 bitop3:0x40
	v_cmp_gt_u32_e64 s8, 8, v118
	s_delay_alu instid0(VALU_DEP_2) | instskip(NEXT) | instid1(VALU_DEP_1)
	v_clz_i32_u32_e32 v2, v2
	v_min_u32_e32 v2, 32, v2
	s_delay_alu instid0(VALU_DEP_1) | instskip(NEXT) | instid1(VALU_DEP_1)
	v_subrev_nc_u32_e32 v44, 28, v2
	v_dual_sub_nc_u32 v2, 29, v2 :: v_dual_cndmask_b32 v118, 0, v44, s8
	s_delay_alu instid0(VALU_DEP_1) | instskip(NEXT) | instid1(VALU_DEP_2)
	v_cndmask_b32_e64 v2, v119, v2, s8
	v_lshlrev_b64_e32 v[118:119], v118, v[4:5]
	v_lshlrev_b32_e32 v5, 24, v4
	s_delay_alu instid0(VALU_DEP_3) | instskip(NEXT) | instid1(VALU_DEP_2)
	v_lshl_add_u32 v2, v2, 23, 0x3c000000
	v_and_b32_e32 v5, 0x80000000, v5
	s_delay_alu instid0(VALU_DEP_4) | instskip(NEXT) | instid1(VALU_DEP_1)
	v_lshlrev_b32_e32 v118, 20, v118
	v_and_b32_e32 v118, 0x700000, v118
	s_delay_alu instid0(VALU_DEP_1)
	v_or3_b32 v2, v118, v5, v2
.LBB4_790:                              ;   in Loop: Header=BB4_569 Depth=2
	s_or_b32 exec_lo, exec_lo, s21
.LBB4_791:                              ;   in Loop: Header=BB4_569 Depth=2
	s_delay_alu instid0(SALU_CYCLE_1)
	s_or_b32 exec_lo, exec_lo, s20
.LBB4_792:                              ;   in Loop: Header=BB4_569 Depth=2
	s_delay_alu instid0(SALU_CYCLE_1) | instskip(SKIP_2) | instid1(VALU_DEP_1)
	s_or_b32 exec_lo, exec_lo, s19
	v_and_b32_e32 v5, 0xff, v54
	s_mov_b32 s19, exec_lo
	v_cmpx_ne_u16_e32 0, v5
	s_cbranch_execz .LBB4_798
; %bb.793:                              ;   in Loop: Header=BB4_569 Depth=2
	v_bfrev_b32_e32 v3, 1
	s_mov_b32 s20, exec_lo
	v_cmpx_ne_u16_e32 0x80, v5
	s_cbranch_execz .LBB4_797
; %bb.794:                              ;   in Loop: Header=BB4_569 Depth=2
	v_and_b32_e32 v5, 0x7f, v54
	v_mov_b32_e32 v3, 0x7f800001
	s_mov_b32 s21, exec_lo
	s_delay_alu instid0(VALU_DEP_2)
	v_cmpx_ne_u32_e32 0x7f, v5
	s_cbranch_execz .LBB4_796
; %bb.795:                              ;   in Loop: Header=BB4_569 Depth=2
	v_dual_lshrrev_b32 v118, 3, v5 :: v_dual_bitop2_b32 v3, 7, v54 bitop3:0x40
	v_cmp_gt_u32_e64 s8, 8, v5
	s_delay_alu instid0(VALU_DEP_2) | instskip(NEXT) | instid1(VALU_DEP_1)
	v_clz_i32_u32_e32 v3, v3
	v_min_u32_e32 v3, 32, v3
	s_delay_alu instid0(VALU_DEP_1) | instskip(SKIP_1) | instid1(VALU_DEP_2)
	v_subrev_nc_u32_e32 v119, 28, v3
	v_sub_nc_u32_e32 v3, 29, v3
	v_cndmask_b32_e64 v5, 0, v119, s8
	s_delay_alu instid0(VALU_DEP_2) | instskip(NEXT) | instid1(VALU_DEP_2)
	v_cndmask_b32_e64 v3, v118, v3, s8
	v_lshlrev_b64_e32 v[118:119], v5, v[54:55]
	v_lshlrev_b32_e32 v5, 24, v54
	s_delay_alu instid0(VALU_DEP_1) | instskip(NEXT) | instid1(VALU_DEP_3)
	v_and_b32_e32 v5, 0x80000000, v5
	v_lshlrev_b32_e32 v118, 20, v118
	v_lshl_add_u32 v3, v3, 23, 0x3c000000
	s_delay_alu instid0(VALU_DEP_2) | instskip(NEXT) | instid1(VALU_DEP_1)
	v_and_b32_e32 v118, 0x700000, v118
	v_or3_b32 v3, v118, v5, v3
.LBB4_796:                              ;   in Loop: Header=BB4_569 Depth=2
	s_or_b32 exec_lo, exec_lo, s21
.LBB4_797:                              ;   in Loop: Header=BB4_569 Depth=2
	s_delay_alu instid0(SALU_CYCLE_1)
	s_or_b32 exec_lo, exec_lo, s20
.LBB4_798:                              ;   in Loop: Header=BB4_569 Depth=2
	s_delay_alu instid0(SALU_CYCLE_1) | instskip(NEXT) | instid1(VALU_DEP_1)
	s_or_b32 exec_lo, exec_lo, s19
	v_dual_max_num_f32 v3, v3, v3 :: v_dual_max_num_f32 v2, v2, v2
                                        ; implicit-def: $vgpr118
	s_delay_alu instid0(VALU_DEP_1)
	v_max_num_f32_e32 v2, v2, v3
.LBB4_799:                              ;   in Loop: Header=BB4_569 Depth=2
	s_and_not1_saveexec_b32 s8, s18
	s_cbranch_execz .LBB4_813
; %bb.800:                              ;   in Loop: Header=BB4_569 Depth=2
	v_dual_mov_b32 v3, 0 :: v_dual_mov_b32 v2, 0
	s_and_saveexec_b32 s18, vcc_lo
	s_cbranch_execz .LBB4_806
; %bb.801:                              ;   in Loop: Header=BB4_569 Depth=2
	v_bfrev_b32_e32 v2, 1
	s_mov_b32 s19, exec_lo
	v_cmpx_ne_u16_e32 0x80, v118
	s_cbranch_execz .LBB4_805
; %bb.802:                              ;   in Loop: Header=BB4_569 Depth=2
	v_and_b32_e32 v118, 0x7f, v4
	v_mov_b32_e32 v2, 0x7f800001
	s_mov_b32 s20, exec_lo
	s_delay_alu instid0(VALU_DEP_2)
	v_cmpx_ne_u32_e32 0x7f, v118
	s_cbranch_execz .LBB4_804
; %bb.803:                              ;   in Loop: Header=BB4_569 Depth=2
	v_dual_lshrrev_b32 v119, 3, v118 :: v_dual_bitop2_b32 v2, 7, v4 bitop3:0x40
	v_cmp_gt_u32_e32 vcc_lo, 8, v118
	s_delay_alu instid0(VALU_DEP_2) | instskip(NEXT) | instid1(VALU_DEP_1)
	v_clz_i32_u32_e32 v2, v2
	v_min_u32_e32 v2, 32, v2
	s_delay_alu instid0(VALU_DEP_1) | instskip(NEXT) | instid1(VALU_DEP_1)
	v_subrev_nc_u32_e32 v44, 28, v2
	v_dual_sub_nc_u32 v2, 29, v2 :: v_dual_cndmask_b32 v118, 0, v44, vcc_lo
	s_delay_alu instid0(VALU_DEP_1) | instskip(NEXT) | instid1(VALU_DEP_2)
	v_cndmask_b32_e32 v2, v119, v2, vcc_lo
	v_lshlrev_b64_e32 v[118:119], v118, v[4:5]
	v_lshlrev_b32_e32 v5, 24, v4
	s_delay_alu instid0(VALU_DEP_3) | instskip(NEXT) | instid1(VALU_DEP_2)
	v_lshl_add_u32 v2, v2, 23, 0x3c000000
	v_and_b32_e32 v5, 0x80000000, v5
	s_delay_alu instid0(VALU_DEP_4) | instskip(NEXT) | instid1(VALU_DEP_1)
	v_lshlrev_b32_e32 v118, 20, v118
	v_and_b32_e32 v118, 0x700000, v118
	s_delay_alu instid0(VALU_DEP_1)
	v_or3_b32 v2, v118, v5, v2
.LBB4_804:                              ;   in Loop: Header=BB4_569 Depth=2
	s_or_b32 exec_lo, exec_lo, s20
.LBB4_805:                              ;   in Loop: Header=BB4_569 Depth=2
	s_delay_alu instid0(SALU_CYCLE_1)
	s_or_b32 exec_lo, exec_lo, s19
.LBB4_806:                              ;   in Loop: Header=BB4_569 Depth=2
	s_delay_alu instid0(SALU_CYCLE_1) | instskip(SKIP_2) | instid1(VALU_DEP_1)
	s_or_b32 exec_lo, exec_lo, s18
	v_and_b32_e32 v5, 0xff, v54
	s_mov_b32 s18, exec_lo
	v_cmpx_ne_u16_e32 0, v5
	s_cbranch_execz .LBB4_812
; %bb.807:                              ;   in Loop: Header=BB4_569 Depth=2
	v_bfrev_b32_e32 v3, 1
	s_mov_b32 s19, exec_lo
	v_cmpx_ne_u16_e32 0x80, v5
	s_cbranch_execz .LBB4_811
; %bb.808:                              ;   in Loop: Header=BB4_569 Depth=2
	v_and_b32_e32 v5, 0x7f, v54
	v_mov_b32_e32 v3, 0x7f800001
	s_mov_b32 s20, exec_lo
	s_delay_alu instid0(VALU_DEP_2)
	v_cmpx_ne_u32_e32 0x7f, v5
	s_cbranch_execz .LBB4_810
; %bb.809:                              ;   in Loop: Header=BB4_569 Depth=2
	v_dual_lshrrev_b32 v118, 3, v5 :: v_dual_bitop2_b32 v3, 7, v54 bitop3:0x40
	v_cmp_gt_u32_e32 vcc_lo, 8, v5
	s_delay_alu instid0(VALU_DEP_2) | instskip(NEXT) | instid1(VALU_DEP_1)
	v_clz_i32_u32_e32 v3, v3
	v_min_u32_e32 v3, 32, v3
	s_delay_alu instid0(VALU_DEP_1) | instskip(SKIP_1) | instid1(VALU_DEP_2)
	v_subrev_nc_u32_e32 v119, 28, v3
	v_sub_nc_u32_e32 v3, 29, v3
	v_cndmask_b32_e32 v5, 0, v119, vcc_lo
	s_delay_alu instid0(VALU_DEP_2) | instskip(NEXT) | instid1(VALU_DEP_2)
	v_cndmask_b32_e32 v3, v118, v3, vcc_lo
	v_lshlrev_b64_e32 v[118:119], v5, v[54:55]
	v_lshlrev_b32_e32 v5, 24, v54
	s_delay_alu instid0(VALU_DEP_1) | instskip(NEXT) | instid1(VALU_DEP_3)
	v_and_b32_e32 v5, 0x80000000, v5
	v_lshlrev_b32_e32 v118, 20, v118
	v_lshl_add_u32 v3, v3, 23, 0x3c000000
	s_delay_alu instid0(VALU_DEP_2) | instskip(NEXT) | instid1(VALU_DEP_1)
	v_and_b32_e32 v118, 0x700000, v118
	v_or3_b32 v3, v118, v5, v3
.LBB4_810:                              ;   in Loop: Header=BB4_569 Depth=2
	s_or_b32 exec_lo, exec_lo, s20
.LBB4_811:                              ;   in Loop: Header=BB4_569 Depth=2
	s_delay_alu instid0(SALU_CYCLE_1)
	s_or_b32 exec_lo, exec_lo, s19
.LBB4_812:                              ;   in Loop: Header=BB4_569 Depth=2
	s_delay_alu instid0(SALU_CYCLE_1) | instskip(NEXT) | instid1(VALU_DEP_1)
	s_or_b32 exec_lo, exec_lo, s18
	v_dual_max_num_f32 v3, v3, v3 :: v_dual_max_num_f32 v2, v2, v2
	s_delay_alu instid0(VALU_DEP_1)
	v_min_num_f32_e32 v2, v2, v3
.LBB4_813:                              ;   in Loop: Header=BB4_569 Depth=2
	s_or_b32 exec_lo, exec_lo, s8
	s_delay_alu instid0(VALU_DEP_1) | instskip(SKIP_2) | instid1(VALU_DEP_1)
	v_and_b32_e32 v118, 0x7f800000, v2
	v_dual_mov_b32 v119, v55 :: v_dual_lshrrev_b32 v3, 24, v2
                                        ; implicit-def: $vgpr44
	s_mov_b32 s8, exec_lo
	v_cmpx_ne_u64_e32 0x7f800000, v[118:119]
	s_xor_b32 s18, exec_lo, s8
	s_cbranch_execz .LBB4_827
; %bb.814:                              ;   in Loop: Header=BB4_569 Depth=2
	v_and_b32_e32 v118, 0x7fffffff, v2
	v_mov_b32_e32 v119, v55
	v_and_b32_e32 v5, 0x80, v3
                                        ; implicit-def: $vgpr44
	s_mov_b32 s8, exec_lo
	s_delay_alu instid0(VALU_DEP_2)
	v_cmpx_gt_u64_e32 0x43e00001, v[118:119]
	s_xor_b32 s19, exec_lo, s8
	s_cbranch_execz .LBB4_824
; %bb.815:                              ;   in Loop: Header=BB4_569 Depth=2
	v_mov_b32_e32 v44, 0
	s_mov_b32 s20, exec_lo
	v_cmpx_ne_u32_e32 0, v2
	s_cbranch_execz .LBB4_823
; %bb.816:                              ;   in Loop: Header=BB4_569 Depth=2
	v_bfe_u32 v44, v2, 23, 8
	v_and_b32_e32 v118, 0x7fffff, v2
	s_mov_b32 s21, exec_lo
	s_delay_alu instid0(VALU_DEP_2) | instskip(NEXT) | instid1(VALU_DEP_2)
	v_cmp_gt_u32_e32 vcc_lo, 0x7a, v44
	v_or_b32_e32 v119, 0x800000, v118
	v_sub_nc_u32_e32 v3, 0x79, v44
	s_delay_alu instid0(VALU_DEP_1) | instskip(SKIP_1) | instid1(VALU_DEP_2)
	v_cndmask_b32_e32 v3, 0, v3, vcc_lo
	v_cmp_eq_u32_e32 vcc_lo, 0, v44
	v_cndmask_b32_e64 v45, v3, 0x78, vcc_lo
	v_cndmask_b32_e32 v118, v119, v118, vcc_lo
	s_delay_alu instid0(VALU_DEP_2) | instskip(SKIP_1) | instid1(VALU_DEP_2)
	v_dual_mov_b32 v119, v55 :: v_dual_add_nc_u32 v46, 19, v45
	v_add_nc_u32_e32 v2, 20, v45
	v_lshlrev_b64_e64 v[46:47], v46, 1
	s_delay_alu instid0(VALU_DEP_2) | instskip(NEXT) | instid1(VALU_DEP_1)
	v_lshlrev_b64_e64 v[2:3], v2, -1
	v_bfi_b32 v59, v3, 0, 0
	s_delay_alu instid0(VALU_DEP_2) | instskip(SKIP_1) | instid1(VALU_DEP_1)
	v_bfi_b32 v58, v2, 0, v118
	v_lshrrev_b64 v[2:3], v45, v[118:119]
	v_mov_b64_e32 v[118:119], v[2:3]
	s_delay_alu instid0(VALU_DEP_3)
	v_cmpx_eq_u64_e64 v[58:59], v[46:47]
; %bb.817:                              ;   in Loop: Header=BB4_569 Depth=2
	v_bfe_u32 v118, v2, 20, 1
	v_mov_b32_e32 v119, v55
	s_delay_alu instid0(VALU_DEP_1) | instskip(NEXT) | instid1(VALU_DEP_1)
	v_add_nc_u64_e32 v[118:119], v[2:3], v[118:119]
	v_add_nc_u64_e32 v[118:119], -1, v[118:119]
; %bb.818:                              ;   in Loop: Header=BB4_569 Depth=2
	s_or_b32 exec_lo, exec_lo, s21
	v_add_nc_u32_e32 v3, 0xffffff81, v44
	v_lshrrev_b32_e32 v119, 23, v2
	s_mov_b32 s8, exec_lo
	s_delay_alu instid0(VALU_DEP_2) | instskip(NEXT) | instid1(VALU_DEP_1)
	v_cndmask_b32_e64 v3, v3, 0xffffff82, vcc_lo
	v_add3_u32 v119, v45, v3, v119
	v_and_b32_e32 v3, 0xfffff, v118
                                        ; implicit-def: $vgpr118
	s_delay_alu instid0(VALU_DEP_1) | instskip(SKIP_1) | instid1(VALU_DEP_2)
	v_dual_add_nc_u32 v44, 6, v119 :: v_dual_add_nc_u32 v2, v3, v2
	v_mov_b32_e32 v3, v55
	v_cmpx_ne_u32_e32 0, v44
	s_xor_b32 s8, exec_lo, s8
; %bb.819:                              ;   in Loop: Header=BB4_569 Depth=2
	s_delay_alu instid0(VALU_DEP_2) | instskip(SKIP_2) | instid1(VALU_DEP_2)
	v_cmp_lt_u64_e32 vcc_lo, 0xffffff, v[2:3]
	v_add_nc_u32_e32 v118, 7, v119
	v_cndmask_b32_e64 v119, 0, 1, vcc_lo
	v_cndmask_b32_e32 v118, v44, v118, vcc_lo
	s_delay_alu instid0(VALU_DEP_2)
	v_lshrrev_b64 v[2:3], v119, v[2:3]
; %bb.820:                              ;   in Loop: Header=BB4_569 Depth=2
	s_and_not1_saveexec_b32 s8, s8
; %bb.821:                              ;   in Loop: Header=BB4_569 Depth=2
	s_delay_alu instid0(VALU_DEP_1)
	v_bfe_u32 v118, v2, 23, 1
; %bb.822:                              ;   in Loop: Header=BB4_569 Depth=2
	s_or_b32 exec_lo, exec_lo, s8
	s_delay_alu instid0(VALU_DEP_2) | instskip(NEXT) | instid1(VALU_DEP_2)
	v_lshrrev_b64 v[2:3], 20, v[2:3]
	v_cmp_gt_i32_e32 vcc_lo, 16, v118
	v_min_i32_e32 v119, 15, v118
	v_cmp_eq_u32_e64 s8, 0, v118
	s_delay_alu instid0(VALU_DEP_4) | instskip(NEXT) | instid1(VALU_DEP_3)
	v_cndmask_b32_e32 v3, 0, v3, vcc_lo
	v_dual_cndmask_b32 v2, 7, v2 :: v_dual_lshlrev_b32 v119, 3, v119
	s_delay_alu instid0(VALU_DEP_1) | instskip(NEXT) | instid1(VALU_DEP_2)
	v_and_b32_e32 v119, 0xf8, v119
	v_cmp_eq_u64_e32 vcc_lo, 0, v[2:3]
	s_delay_alu instid0(VALU_DEP_2)
	v_and_or_b32 v2, v2, 7, v119
	s_and_b32 s8, s8, vcc_lo
	s_delay_alu instid0(VALU_DEP_1) | instid1(SALU_CYCLE_1)
	v_cndmask_b32_e64 v2, v2, 0, s8
	s_delay_alu instid0(VALU_DEP_1)
	v_or_b32_e32 v44, v2, v5
.LBB4_823:                              ;   in Loop: Header=BB4_569 Depth=2
	s_or_b32 exec_lo, exec_lo, s20
                                        ; implicit-def: $vgpr5
.LBB4_824:                              ;   in Loop: Header=BB4_569 Depth=2
	s_and_not1_saveexec_b32 s8, s19
; %bb.825:                              ;   in Loop: Header=BB4_569 Depth=2
	v_or_b32_e32 v44, 0x7e, v5
; %bb.826:                              ;   in Loop: Header=BB4_569 Depth=2
	s_or_b32 exec_lo, exec_lo, s8
                                        ; implicit-def: $vgpr3
.LBB4_827:                              ;   in Loop: Header=BB4_569 Depth=2
	s_and_not1_saveexec_b32 s8, s18
; %bb.828:                              ;   in Loop: Header=BB4_569 Depth=2
	v_or_b32_e32 v44, 0x7f, v3
; %bb.829:                              ;   in Loop: Header=BB4_569 Depth=2
	s_or_b32 exec_lo, exec_lo, s8
	v_lshrrev_b16 v3, 8, v4
	v_lshrrev_b16 v5, 8, v54
                                        ; implicit-def: $vgpr2
	s_delay_alu instid0(VALU_DEP_2) | instskip(SKIP_1) | instid1(SALU_CYCLE_1)
	v_cmp_ne_u16_e32 vcc_lo, 0, v3
	s_and_saveexec_b32 s8, s6
	s_xor_b32 s18, exec_lo, s8
	s_cbranch_execz .LBB4_847
; %bb.830:                              ;   in Loop: Header=BB4_569 Depth=2
	v_dual_mov_b32 v119, 0 :: v_dual_mov_b32 v118, 0
	s_and_saveexec_b32 s19, vcc_lo
	s_cbranch_execz .LBB4_838
; %bb.831:                              ;   in Loop: Header=BB4_569 Depth=2
	v_bfrev_b32_e32 v118, 1
	s_mov_b32 s20, exec_lo
	v_cmpx_ne_u16_e32 0x80, v3
	s_cbranch_execz .LBB4_837
; %bb.832:                              ;   in Loop: Header=BB4_569 Depth=2
	v_and_b32_e32 v2, 0xffff, v3
	v_mov_b32_e32 v118, 0x7f800001
	s_mov_b32 s21, exec_lo
	s_delay_alu instid0(VALU_DEP_2) | instskip(NEXT) | instid1(VALU_DEP_1)
	v_and_b32_e32 v45, 0x7f, v2
	v_cmpx_ne_u32_e32 0x7f, v45
	s_cbranch_execz .LBB4_836
; %bb.833:                              ;   in Loop: Header=BB4_569 Depth=2
	v_dual_mov_b32 v3, v55 :: v_dual_bitop2_b32 v2, 7, v2 bitop3:0x40
	v_lshrrev_b32_e32 v118, 3, v45
	s_mov_b32 s22, exec_lo
	v_cmpx_gt_u32_e32 8, v45
; %bb.834:                              ;   in Loop: Header=BB4_569 Depth=2
	s_delay_alu instid0(VALU_DEP_3) | instskip(NEXT) | instid1(VALU_DEP_1)
	v_clz_i32_u32_e32 v118, v2
	v_min_u32_e32 v118, 32, v118
	s_delay_alu instid0(VALU_DEP_1) | instskip(SKIP_1) | instid1(VALU_DEP_2)
	v_subrev_nc_u32_e32 v45, 28, v118
	v_sub_nc_u32_e32 v118, 29, v118
	v_lshlrev_b64_e32 v[2:3], v45, v[2:3]
	s_delay_alu instid0(VALU_DEP_1)
	v_and_b32_e32 v2, 7, v2
; %bb.835:                              ;   in Loop: Header=BB4_569 Depth=2
	s_or_b32 exec_lo, exec_lo, s22
	s_delay_alu instid0(VALU_DEP_1) | instskip(SKIP_1) | instid1(VALU_DEP_2)
	v_dual_lshlrev_b32 v3, 16, v4 :: v_dual_lshlrev_b32 v2, 20, v2
	v_lshl_add_u32 v118, v118, 23, 0x3c000000
	v_and_b32_e32 v3, 0x80000000, v3
	s_delay_alu instid0(VALU_DEP_1)
	v_or3_b32 v118, v2, v3, v118
.LBB4_836:                              ;   in Loop: Header=BB4_569 Depth=2
	s_or_b32 exec_lo, exec_lo, s21
.LBB4_837:                              ;   in Loop: Header=BB4_569 Depth=2
	s_delay_alu instid0(SALU_CYCLE_1)
	s_or_b32 exec_lo, exec_lo, s20
.LBB4_838:                              ;   in Loop: Header=BB4_569 Depth=2
	s_delay_alu instid0(SALU_CYCLE_1) | instskip(NEXT) | instid1(SALU_CYCLE_1)
	s_or_b32 exec_lo, exec_lo, s19
	s_mov_b32 s19, exec_lo
	v_cmpx_ne_u16_e32 0, v5
	s_cbranch_execz .LBB4_846
; %bb.839:                              ;   in Loop: Header=BB4_569 Depth=2
	v_bfrev_b32_e32 v119, 1
	s_mov_b32 s20, exec_lo
	v_cmpx_ne_u16_e32 0x80, v5
	s_cbranch_execz .LBB4_845
; %bb.840:                              ;   in Loop: Header=BB4_569 Depth=2
	v_and_b32_e32 v2, 0xffff, v5
	v_mov_b32_e32 v119, 0x7f800001
	s_mov_b32 s21, exec_lo
	s_delay_alu instid0(VALU_DEP_2) | instskip(NEXT) | instid1(VALU_DEP_1)
	v_and_b32_e32 v45, 0x7f, v2
	v_cmpx_ne_u32_e32 0x7f, v45
	s_cbranch_execz .LBB4_844
; %bb.841:                              ;   in Loop: Header=BB4_569 Depth=2
	v_dual_mov_b32 v3, v55 :: v_dual_bitop2_b32 v2, 7, v2 bitop3:0x40
	v_lshrrev_b32_e32 v5, 3, v45
	s_mov_b32 s22, exec_lo
	v_cmpx_gt_u32_e32 8, v45
; %bb.842:                              ;   in Loop: Header=BB4_569 Depth=2
	s_delay_alu instid0(VALU_DEP_3) | instskip(NEXT) | instid1(VALU_DEP_1)
	v_clz_i32_u32_e32 v5, v2
	v_min_u32_e32 v5, 32, v5
	s_delay_alu instid0(VALU_DEP_1) | instskip(NEXT) | instid1(VALU_DEP_1)
	v_subrev_nc_u32_e32 v119, 28, v5
	v_lshlrev_b64_e32 v[2:3], v119, v[2:3]
	s_delay_alu instid0(VALU_DEP_1)
	v_dual_sub_nc_u32 v5, 29, v5 :: v_dual_bitop2_b32 v2, 7, v2 bitop3:0x40
; %bb.843:                              ;   in Loop: Header=BB4_569 Depth=2
	s_or_b32 exec_lo, exec_lo, s22
	v_lshlrev_b32_e32 v3, 16, v54
	s_delay_alu instid0(VALU_DEP_2) | instskip(NEXT) | instid1(VALU_DEP_3)
	v_lshlrev_b32_e32 v2, 20, v2
	v_lshl_add_u32 v5, v5, 23, 0x3c000000
	s_delay_alu instid0(VALU_DEP_3) | instskip(NEXT) | instid1(VALU_DEP_1)
	v_and_b32_e32 v3, 0x80000000, v3
	v_or3_b32 v119, v2, v3, v5
.LBB4_844:                              ;   in Loop: Header=BB4_569 Depth=2
	s_or_b32 exec_lo, exec_lo, s21
.LBB4_845:                              ;   in Loop: Header=BB4_569 Depth=2
	s_delay_alu instid0(SALU_CYCLE_1)
	s_or_b32 exec_lo, exec_lo, s20
.LBB4_846:                              ;   in Loop: Header=BB4_569 Depth=2
	s_delay_alu instid0(SALU_CYCLE_1) | instskip(NEXT) | instid1(VALU_DEP_1)
	s_or_b32 exec_lo, exec_lo, s19
	v_dual_max_num_f32 v2, v119, v119 :: v_dual_max_num_f32 v3, v118, v118
                                        ; implicit-def: $vgpr5
	s_delay_alu instid0(VALU_DEP_1)
	v_max_num_f32_e32 v2, v3, v2
                                        ; implicit-def: $vgpr3
.LBB4_847:                              ;   in Loop: Header=BB4_569 Depth=2
	s_and_not1_saveexec_b32 s8, s18
	s_cbranch_execz .LBB4_865
; %bb.848:                              ;   in Loop: Header=BB4_569 Depth=2
	v_dual_mov_b32 v119, 0 :: v_dual_mov_b32 v118, 0
	s_and_saveexec_b32 s18, vcc_lo
	s_cbranch_execz .LBB4_856
; %bb.849:                              ;   in Loop: Header=BB4_569 Depth=2
	v_bfrev_b32_e32 v118, 1
	s_mov_b32 s19, exec_lo
	v_cmpx_ne_u16_e32 0x80, v3
	s_cbranch_execz .LBB4_855
; %bb.850:                              ;   in Loop: Header=BB4_569 Depth=2
	v_and_b32_e32 v2, 0xffff, v3
	v_mov_b32_e32 v118, 0x7f800001
	s_mov_b32 s20, exec_lo
	s_delay_alu instid0(VALU_DEP_2) | instskip(NEXT) | instid1(VALU_DEP_1)
	v_and_b32_e32 v45, 0x7f, v2
	v_cmpx_ne_u32_e32 0x7f, v45
	s_cbranch_execz .LBB4_854
; %bb.851:                              ;   in Loop: Header=BB4_569 Depth=2
	v_dual_mov_b32 v3, v55 :: v_dual_bitop2_b32 v2, 7, v2 bitop3:0x40
	v_lshrrev_b32_e32 v118, 3, v45
	s_mov_b32 s21, exec_lo
	v_cmpx_gt_u32_e32 8, v45
; %bb.852:                              ;   in Loop: Header=BB4_569 Depth=2
	s_delay_alu instid0(VALU_DEP_3) | instskip(NEXT) | instid1(VALU_DEP_1)
	v_clz_i32_u32_e32 v118, v2
	v_min_u32_e32 v118, 32, v118
	s_delay_alu instid0(VALU_DEP_1) | instskip(SKIP_1) | instid1(VALU_DEP_2)
	v_subrev_nc_u32_e32 v45, 28, v118
	v_sub_nc_u32_e32 v118, 29, v118
	v_lshlrev_b64_e32 v[2:3], v45, v[2:3]
	s_delay_alu instid0(VALU_DEP_1)
	v_and_b32_e32 v2, 7, v2
; %bb.853:                              ;   in Loop: Header=BB4_569 Depth=2
	s_or_b32 exec_lo, exec_lo, s21
	s_delay_alu instid0(VALU_DEP_1) | instskip(SKIP_1) | instid1(VALU_DEP_2)
	v_dual_lshlrev_b32 v3, 16, v4 :: v_dual_lshlrev_b32 v2, 20, v2
	v_lshl_add_u32 v118, v118, 23, 0x3c000000
	v_and_b32_e32 v3, 0x80000000, v3
	s_delay_alu instid0(VALU_DEP_1)
	v_or3_b32 v118, v2, v3, v118
.LBB4_854:                              ;   in Loop: Header=BB4_569 Depth=2
	s_or_b32 exec_lo, exec_lo, s20
.LBB4_855:                              ;   in Loop: Header=BB4_569 Depth=2
	s_delay_alu instid0(SALU_CYCLE_1)
	s_or_b32 exec_lo, exec_lo, s19
.LBB4_856:                              ;   in Loop: Header=BB4_569 Depth=2
	s_delay_alu instid0(SALU_CYCLE_1) | instskip(NEXT) | instid1(SALU_CYCLE_1)
	s_or_b32 exec_lo, exec_lo, s18
	s_mov_b32 s18, exec_lo
	v_cmpx_ne_u16_e32 0, v5
	s_cbranch_execz .LBB4_864
; %bb.857:                              ;   in Loop: Header=BB4_569 Depth=2
	v_bfrev_b32_e32 v119, 1
	s_mov_b32 s19, exec_lo
	v_cmpx_ne_u16_e32 0x80, v5
	s_cbranch_execz .LBB4_863
; %bb.858:                              ;   in Loop: Header=BB4_569 Depth=2
	v_and_b32_e32 v2, 0xffff, v5
	v_mov_b32_e32 v119, 0x7f800001
	s_mov_b32 s20, exec_lo
	s_delay_alu instid0(VALU_DEP_2) | instskip(NEXT) | instid1(VALU_DEP_1)
	v_and_b32_e32 v45, 0x7f, v2
	v_cmpx_ne_u32_e32 0x7f, v45
	s_cbranch_execz .LBB4_862
; %bb.859:                              ;   in Loop: Header=BB4_569 Depth=2
	v_dual_mov_b32 v3, v55 :: v_dual_bitop2_b32 v2, 7, v2 bitop3:0x40
	v_lshrrev_b32_e32 v5, 3, v45
	s_mov_b32 s21, exec_lo
	v_cmpx_gt_u32_e32 8, v45
; %bb.860:                              ;   in Loop: Header=BB4_569 Depth=2
	s_delay_alu instid0(VALU_DEP_3) | instskip(NEXT) | instid1(VALU_DEP_1)
	v_clz_i32_u32_e32 v5, v2
	v_min_u32_e32 v5, 32, v5
	s_delay_alu instid0(VALU_DEP_1) | instskip(NEXT) | instid1(VALU_DEP_1)
	v_subrev_nc_u32_e32 v119, 28, v5
	v_lshlrev_b64_e32 v[2:3], v119, v[2:3]
	s_delay_alu instid0(VALU_DEP_1)
	v_dual_sub_nc_u32 v5, 29, v5 :: v_dual_bitop2_b32 v2, 7, v2 bitop3:0x40
; %bb.861:                              ;   in Loop: Header=BB4_569 Depth=2
	s_or_b32 exec_lo, exec_lo, s21
	v_lshlrev_b32_e32 v3, 16, v54
	s_delay_alu instid0(VALU_DEP_2) | instskip(NEXT) | instid1(VALU_DEP_3)
	v_lshlrev_b32_e32 v2, 20, v2
	v_lshl_add_u32 v5, v5, 23, 0x3c000000
	s_delay_alu instid0(VALU_DEP_3) | instskip(NEXT) | instid1(VALU_DEP_1)
	v_and_b32_e32 v3, 0x80000000, v3
	v_or3_b32 v119, v2, v3, v5
.LBB4_862:                              ;   in Loop: Header=BB4_569 Depth=2
	s_or_b32 exec_lo, exec_lo, s20
.LBB4_863:                              ;   in Loop: Header=BB4_569 Depth=2
	s_delay_alu instid0(SALU_CYCLE_1)
	s_or_b32 exec_lo, exec_lo, s19
.LBB4_864:                              ;   in Loop: Header=BB4_569 Depth=2
	s_delay_alu instid0(SALU_CYCLE_1) | instskip(NEXT) | instid1(VALU_DEP_1)
	s_or_b32 exec_lo, exec_lo, s18
	v_dual_max_num_f32 v2, v119, v119 :: v_dual_max_num_f32 v3, v118, v118
	s_delay_alu instid0(VALU_DEP_1)
	v_min_num_f32_e32 v2, v3, v2
.LBB4_865:                              ;   in Loop: Header=BB4_569 Depth=2
	s_or_b32 exec_lo, exec_lo, s8
	s_delay_alu instid0(VALU_DEP_1) | instskip(SKIP_2) | instid1(VALU_DEP_1)
	v_and_b32_e32 v118, 0x7f800000, v2
	v_dual_mov_b32 v119, v55 :: v_dual_lshrrev_b32 v3, 24, v2
                                        ; implicit-def: $vgpr45
	s_mov_b32 s8, exec_lo
	v_cmpx_ne_u64_e32 0x7f800000, v[118:119]
	s_xor_b32 s18, exec_lo, s8
	s_cbranch_execz .LBB4_879
; %bb.866:                              ;   in Loop: Header=BB4_569 Depth=2
	v_and_b32_e32 v118, 0x7fffffff, v2
	v_mov_b32_e32 v119, v55
	v_and_b32_e32 v5, 0x80, v3
                                        ; implicit-def: $vgpr45
	s_mov_b32 s8, exec_lo
	s_delay_alu instid0(VALU_DEP_2)
	v_cmpx_gt_u64_e32 0x43e00001, v[118:119]
	s_xor_b32 s19, exec_lo, s8
	s_cbranch_execz .LBB4_876
; %bb.867:                              ;   in Loop: Header=BB4_569 Depth=2
	v_mov_b32_e32 v45, 0
	s_mov_b32 s20, exec_lo
	v_cmpx_ne_u32_e32 0, v2
	s_cbranch_execz .LBB4_875
; %bb.868:                              ;   in Loop: Header=BB4_569 Depth=2
	v_bfe_u32 v45, v2, 23, 8
	v_and_b32_e32 v118, 0x7fffff, v2
	s_mov_b32 s21, exec_lo
	s_delay_alu instid0(VALU_DEP_2) | instskip(NEXT) | instid1(VALU_DEP_2)
	v_cmp_gt_u32_e32 vcc_lo, 0x7a, v45
	v_or_b32_e32 v119, 0x800000, v118
	v_sub_nc_u32_e32 v3, 0x79, v45
	s_delay_alu instid0(VALU_DEP_1) | instskip(SKIP_1) | instid1(VALU_DEP_2)
	v_cndmask_b32_e32 v3, 0, v3, vcc_lo
	v_cmp_eq_u32_e32 vcc_lo, 0, v45
	v_cndmask_b32_e64 v46, v3, 0x78, vcc_lo
	v_cndmask_b32_e32 v118, v119, v118, vcc_lo
	s_delay_alu instid0(VALU_DEP_2) | instskip(SKIP_1) | instid1(VALU_DEP_2)
	v_dual_mov_b32 v119, v55 :: v_dual_add_nc_u32 v47, 19, v46
	v_add_nc_u32_e32 v2, 20, v46
	v_lshlrev_b64_e64 v[58:59], v47, 1
	s_delay_alu instid0(VALU_DEP_2) | instskip(NEXT) | instid1(VALU_DEP_1)
	v_lshlrev_b64_e64 v[2:3], v2, -1
	v_bfi_b32 v61, v3, 0, 0
	s_delay_alu instid0(VALU_DEP_2) | instskip(SKIP_1) | instid1(VALU_DEP_1)
	v_bfi_b32 v60, v2, 0, v118
	v_lshrrev_b64 v[2:3], v46, v[118:119]
	v_mov_b64_e32 v[118:119], v[2:3]
	s_delay_alu instid0(VALU_DEP_3)
	v_cmpx_eq_u64_e64 v[60:61], v[58:59]
; %bb.869:                              ;   in Loop: Header=BB4_569 Depth=2
	v_bfe_u32 v118, v2, 20, 1
	v_mov_b32_e32 v119, v55
	s_delay_alu instid0(VALU_DEP_1) | instskip(NEXT) | instid1(VALU_DEP_1)
	v_add_nc_u64_e32 v[118:119], v[2:3], v[118:119]
	v_add_nc_u64_e32 v[118:119], -1, v[118:119]
; %bb.870:                              ;   in Loop: Header=BB4_569 Depth=2
	s_or_b32 exec_lo, exec_lo, s21
	v_add_nc_u32_e32 v3, 0xffffff81, v45
	v_lshrrev_b32_e32 v119, 23, v2
	s_mov_b32 s8, exec_lo
	s_delay_alu instid0(VALU_DEP_2) | instskip(NEXT) | instid1(VALU_DEP_1)
	v_cndmask_b32_e64 v3, v3, 0xffffff82, vcc_lo
	v_add3_u32 v119, v46, v3, v119
	v_and_b32_e32 v3, 0xfffff, v118
                                        ; implicit-def: $vgpr118
	s_delay_alu instid0(VALU_DEP_1) | instskip(SKIP_1) | instid1(VALU_DEP_2)
	v_dual_add_nc_u32 v45, 6, v119 :: v_dual_add_nc_u32 v2, v3, v2
	v_mov_b32_e32 v3, v55
	v_cmpx_ne_u32_e32 0, v45
	s_xor_b32 s8, exec_lo, s8
; %bb.871:                              ;   in Loop: Header=BB4_569 Depth=2
	s_delay_alu instid0(VALU_DEP_2) | instskip(SKIP_2) | instid1(VALU_DEP_2)
	v_cmp_lt_u64_e32 vcc_lo, 0xffffff, v[2:3]
	v_add_nc_u32_e32 v118, 7, v119
	v_cndmask_b32_e64 v119, 0, 1, vcc_lo
	v_cndmask_b32_e32 v118, v45, v118, vcc_lo
	s_delay_alu instid0(VALU_DEP_2)
	v_lshrrev_b64 v[2:3], v119, v[2:3]
; %bb.872:                              ;   in Loop: Header=BB4_569 Depth=2
	s_and_not1_saveexec_b32 s8, s8
; %bb.873:                              ;   in Loop: Header=BB4_569 Depth=2
	s_delay_alu instid0(VALU_DEP_1)
	v_bfe_u32 v118, v2, 23, 1
; %bb.874:                              ;   in Loop: Header=BB4_569 Depth=2
	s_or_b32 exec_lo, exec_lo, s8
	s_delay_alu instid0(VALU_DEP_2) | instskip(NEXT) | instid1(VALU_DEP_2)
	v_lshrrev_b64 v[2:3], 20, v[2:3]
	v_cmp_gt_i32_e32 vcc_lo, 16, v118
	v_min_i32_e32 v119, 15, v118
	v_cmp_eq_u32_e64 s8, 0, v118
	s_delay_alu instid0(VALU_DEP_4) | instskip(NEXT) | instid1(VALU_DEP_3)
	v_cndmask_b32_e32 v3, 0, v3, vcc_lo
	v_dual_cndmask_b32 v2, 7, v2 :: v_dual_lshlrev_b32 v119, 3, v119
	s_delay_alu instid0(VALU_DEP_1) | instskip(NEXT) | instid1(VALU_DEP_2)
	v_and_b32_e32 v119, 0xf8, v119
	v_cmp_eq_u64_e32 vcc_lo, 0, v[2:3]
	s_delay_alu instid0(VALU_DEP_2)
	v_and_or_b32 v2, v2, 7, v119
	s_and_b32 s8, s8, vcc_lo
	s_delay_alu instid0(VALU_DEP_1) | instid1(SALU_CYCLE_1)
	v_cndmask_b32_e64 v2, v2, 0, s8
	s_delay_alu instid0(VALU_DEP_1)
	v_or_b32_e32 v45, v2, v5
.LBB4_875:                              ;   in Loop: Header=BB4_569 Depth=2
	s_or_b32 exec_lo, exec_lo, s20
                                        ; implicit-def: $vgpr5
.LBB4_876:                              ;   in Loop: Header=BB4_569 Depth=2
	s_and_not1_saveexec_b32 s8, s19
; %bb.877:                              ;   in Loop: Header=BB4_569 Depth=2
	v_or_b32_e32 v45, 0x7e, v5
; %bb.878:                              ;   in Loop: Header=BB4_569 Depth=2
	s_or_b32 exec_lo, exec_lo, s8
                                        ; implicit-def: $vgpr3
.LBB4_879:                              ;   in Loop: Header=BB4_569 Depth=2
	s_and_not1_saveexec_b32 s8, s18
; %bb.880:                              ;   in Loop: Header=BB4_569 Depth=2
	v_or_b32_e32 v45, 0x7f, v3
; %bb.881:                              ;   in Loop: Header=BB4_569 Depth=2
	s_or_b32 exec_lo, exec_lo, s8
	v_dual_lshrrev_b32 v118, 16, v4 :: v_dual_lshrrev_b32 v5, 16, v54
                                        ; implicit-def: $vgpr2
	s_delay_alu instid0(VALU_DEP_1) | instskip(NEXT) | instid1(VALU_DEP_1)
	v_and_b32_e32 v3, 0xff, v118
	v_cmp_ne_u16_e32 vcc_lo, 0, v3
	s_and_saveexec_b32 s8, s6
	s_delay_alu instid0(SALU_CYCLE_1)
	s_xor_b32 s18, exec_lo, s8
	s_cbranch_execz .LBB4_899
; %bb.882:                              ;   in Loop: Header=BB4_569 Depth=2
	v_dual_mov_b32 v46, 0 :: v_dual_mov_b32 v119, 0
	s_and_saveexec_b32 s19, vcc_lo
	s_cbranch_execz .LBB4_890
; %bb.883:                              ;   in Loop: Header=BB4_569 Depth=2
	v_bfrev_b32_e32 v119, 1
	s_mov_b32 s20, exec_lo
	v_cmpx_ne_u16_e32 0x80, v3
	s_cbranch_execz .LBB4_889
; %bb.884:                              ;   in Loop: Header=BB4_569 Depth=2
	v_bfe_u32 v47, v4, 16, 7
	v_mov_b32_e32 v119, 0x7f800001
	s_mov_b32 s21, exec_lo
	s_delay_alu instid0(VALU_DEP_2)
	v_cmpx_ne_u32_e32 0x7f, v47
	s_cbranch_execz .LBB4_888
; %bb.885:                              ;   in Loop: Header=BB4_569 Depth=2
	v_dual_mov_b32 v3, v55 :: v_dual_bitop2_b32 v2, 7, v118 bitop3:0x40
	v_lshrrev_b32_e32 v119, 3, v47
	s_mov_b32 s22, exec_lo
	v_cmpx_gt_u32_e32 8, v47
; %bb.886:                              ;   in Loop: Header=BB4_569 Depth=2
	s_delay_alu instid0(VALU_DEP_3) | instskip(NEXT) | instid1(VALU_DEP_1)
	v_clz_i32_u32_e32 v119, v2
	v_min_u32_e32 v119, 32, v119
	s_delay_alu instid0(VALU_DEP_1) | instskip(NEXT) | instid1(VALU_DEP_1)
	v_subrev_nc_u32_e32 v47, 28, v119
	v_lshlrev_b64_e32 v[2:3], v47, v[2:3]
	s_delay_alu instid0(VALU_DEP_1)
	v_dual_sub_nc_u32 v119, 29, v119 :: v_dual_bitop2_b32 v2, 7, v2 bitop3:0x40
; %bb.887:                              ;   in Loop: Header=BB4_569 Depth=2
	s_or_b32 exec_lo, exec_lo, s22
	v_lshlrev_b32_e32 v3, 24, v118
	s_delay_alu instid0(VALU_DEP_2) | instskip(NEXT) | instid1(VALU_DEP_3)
	v_lshlrev_b32_e32 v2, 20, v2
	v_lshl_add_u32 v118, v119, 23, 0x3c000000
	s_delay_alu instid0(VALU_DEP_3) | instskip(NEXT) | instid1(VALU_DEP_1)
	v_and_b32_e32 v3, 0x80000000, v3
	v_or3_b32 v119, v2, v3, v118
.LBB4_888:                              ;   in Loop: Header=BB4_569 Depth=2
	s_or_b32 exec_lo, exec_lo, s21
.LBB4_889:                              ;   in Loop: Header=BB4_569 Depth=2
	s_delay_alu instid0(SALU_CYCLE_1)
	s_or_b32 exec_lo, exec_lo, s20
.LBB4_890:                              ;   in Loop: Header=BB4_569 Depth=2
	s_delay_alu instid0(SALU_CYCLE_1) | instskip(SKIP_2) | instid1(VALU_DEP_1)
	s_or_b32 exec_lo, exec_lo, s19
	v_and_b32_e32 v2, 0xff, v5
	s_mov_b32 s19, exec_lo
	v_cmpx_ne_u16_e32 0, v2
	s_cbranch_execz .LBB4_898
; %bb.891:                              ;   in Loop: Header=BB4_569 Depth=2
	v_bfrev_b32_e32 v46, 1
	s_mov_b32 s20, exec_lo
	v_cmpx_ne_u16_e32 0x80, v2
	s_cbranch_execz .LBB4_897
; %bb.892:                              ;   in Loop: Header=BB4_569 Depth=2
	v_bfe_u32 v47, v54, 16, 7
	v_mov_b32_e32 v46, 0x7f800001
	s_mov_b32 s21, exec_lo
	s_delay_alu instid0(VALU_DEP_2)
	v_cmpx_ne_u32_e32 0x7f, v47
	s_cbranch_execz .LBB4_896
; %bb.893:                              ;   in Loop: Header=BB4_569 Depth=2
	v_dual_mov_b32 v3, v55 :: v_dual_bitop2_b32 v2, 7, v5 bitop3:0x40
	v_lshrrev_b32_e32 v118, 3, v47
	s_mov_b32 s22, exec_lo
	v_cmpx_gt_u32_e32 8, v47
; %bb.894:                              ;   in Loop: Header=BB4_569 Depth=2
	s_delay_alu instid0(VALU_DEP_3) | instskip(NEXT) | instid1(VALU_DEP_1)
	v_clz_i32_u32_e32 v118, v2
	v_min_u32_e32 v118, 32, v118
	s_delay_alu instid0(VALU_DEP_1) | instskip(SKIP_1) | instid1(VALU_DEP_2)
	v_subrev_nc_u32_e32 v46, 28, v118
	v_sub_nc_u32_e32 v118, 29, v118
	v_lshlrev_b64_e32 v[2:3], v46, v[2:3]
	s_delay_alu instid0(VALU_DEP_1)
	v_and_b32_e32 v2, 7, v2
; %bb.895:                              ;   in Loop: Header=BB4_569 Depth=2
	s_or_b32 exec_lo, exec_lo, s22
	s_delay_alu instid0(VALU_DEP_1) | instskip(SKIP_1) | instid1(VALU_DEP_2)
	v_dual_lshlrev_b32 v3, 24, v5 :: v_dual_lshlrev_b32 v2, 20, v2
	v_lshl_add_u32 v5, v118, 23, 0x3c000000
	v_and_b32_e32 v3, 0x80000000, v3
	s_delay_alu instid0(VALU_DEP_1)
	v_or3_b32 v46, v2, v3, v5
.LBB4_896:                              ;   in Loop: Header=BB4_569 Depth=2
	s_or_b32 exec_lo, exec_lo, s21
.LBB4_897:                              ;   in Loop: Header=BB4_569 Depth=2
	s_delay_alu instid0(SALU_CYCLE_1)
	s_or_b32 exec_lo, exec_lo, s20
.LBB4_898:                              ;   in Loop: Header=BB4_569 Depth=2
	s_delay_alu instid0(SALU_CYCLE_1) | instskip(NEXT) | instid1(VALU_DEP_1)
	s_or_b32 exec_lo, exec_lo, s19
	v_dual_max_num_f32 v2, v46, v46 :: v_dual_max_num_f32 v3, v119, v119
                                        ; implicit-def: $vgpr5
                                        ; implicit-def: $vgpr118
	s_delay_alu instid0(VALU_DEP_1)
	v_max_num_f32_e32 v2, v3, v2
                                        ; implicit-def: $vgpr3
.LBB4_899:                              ;   in Loop: Header=BB4_569 Depth=2
	s_and_not1_saveexec_b32 s8, s18
	s_cbranch_execz .LBB4_917
; %bb.900:                              ;   in Loop: Header=BB4_569 Depth=2
	v_dual_mov_b32 v46, 0 :: v_dual_mov_b32 v119, 0
	s_and_saveexec_b32 s18, vcc_lo
	s_cbranch_execz .LBB4_908
; %bb.901:                              ;   in Loop: Header=BB4_569 Depth=2
	v_bfrev_b32_e32 v119, 1
	s_mov_b32 s19, exec_lo
	v_cmpx_ne_u16_e32 0x80, v3
	s_cbranch_execz .LBB4_907
; %bb.902:                              ;   in Loop: Header=BB4_569 Depth=2
	v_bfe_u32 v47, v4, 16, 7
	v_mov_b32_e32 v119, 0x7f800001
	s_mov_b32 s20, exec_lo
	s_delay_alu instid0(VALU_DEP_2)
	v_cmpx_ne_u32_e32 0x7f, v47
	s_cbranch_execz .LBB4_906
; %bb.903:                              ;   in Loop: Header=BB4_569 Depth=2
	v_dual_mov_b32 v3, v55 :: v_dual_bitop2_b32 v2, 7, v118 bitop3:0x40
	v_lshrrev_b32_e32 v119, 3, v47
	s_mov_b32 s21, exec_lo
	v_cmpx_gt_u32_e32 8, v47
; %bb.904:                              ;   in Loop: Header=BB4_569 Depth=2
	s_delay_alu instid0(VALU_DEP_3) | instskip(NEXT) | instid1(VALU_DEP_1)
	v_clz_i32_u32_e32 v119, v2
	v_min_u32_e32 v119, 32, v119
	s_delay_alu instid0(VALU_DEP_1) | instskip(NEXT) | instid1(VALU_DEP_1)
	v_subrev_nc_u32_e32 v47, 28, v119
	v_lshlrev_b64_e32 v[2:3], v47, v[2:3]
	s_delay_alu instid0(VALU_DEP_1)
	v_dual_sub_nc_u32 v119, 29, v119 :: v_dual_bitop2_b32 v2, 7, v2 bitop3:0x40
; %bb.905:                              ;   in Loop: Header=BB4_569 Depth=2
	s_or_b32 exec_lo, exec_lo, s21
	v_lshlrev_b32_e32 v3, 24, v118
	s_delay_alu instid0(VALU_DEP_2) | instskip(NEXT) | instid1(VALU_DEP_3)
	v_lshlrev_b32_e32 v2, 20, v2
	v_lshl_add_u32 v118, v119, 23, 0x3c000000
	s_delay_alu instid0(VALU_DEP_3) | instskip(NEXT) | instid1(VALU_DEP_1)
	v_and_b32_e32 v3, 0x80000000, v3
	v_or3_b32 v119, v2, v3, v118
.LBB4_906:                              ;   in Loop: Header=BB4_569 Depth=2
	s_or_b32 exec_lo, exec_lo, s20
.LBB4_907:                              ;   in Loop: Header=BB4_569 Depth=2
	s_delay_alu instid0(SALU_CYCLE_1)
	s_or_b32 exec_lo, exec_lo, s19
.LBB4_908:                              ;   in Loop: Header=BB4_569 Depth=2
	s_delay_alu instid0(SALU_CYCLE_1) | instskip(SKIP_2) | instid1(VALU_DEP_1)
	s_or_b32 exec_lo, exec_lo, s18
	v_and_b32_e32 v2, 0xff, v5
	s_mov_b32 s18, exec_lo
	v_cmpx_ne_u16_e32 0, v2
	s_cbranch_execz .LBB4_916
; %bb.909:                              ;   in Loop: Header=BB4_569 Depth=2
	v_bfrev_b32_e32 v46, 1
	s_mov_b32 s19, exec_lo
	v_cmpx_ne_u16_e32 0x80, v2
	s_cbranch_execz .LBB4_915
; %bb.910:                              ;   in Loop: Header=BB4_569 Depth=2
	v_bfe_u32 v47, v54, 16, 7
	v_mov_b32_e32 v46, 0x7f800001
	s_mov_b32 s20, exec_lo
	s_delay_alu instid0(VALU_DEP_2)
	v_cmpx_ne_u32_e32 0x7f, v47
	s_cbranch_execz .LBB4_914
; %bb.911:                              ;   in Loop: Header=BB4_569 Depth=2
	v_dual_mov_b32 v3, v55 :: v_dual_bitop2_b32 v2, 7, v5 bitop3:0x40
	v_lshrrev_b32_e32 v118, 3, v47
	s_mov_b32 s21, exec_lo
	v_cmpx_gt_u32_e32 8, v47
; %bb.912:                              ;   in Loop: Header=BB4_569 Depth=2
	s_delay_alu instid0(VALU_DEP_3) | instskip(NEXT) | instid1(VALU_DEP_1)
	v_clz_i32_u32_e32 v118, v2
	v_min_u32_e32 v118, 32, v118
	s_delay_alu instid0(VALU_DEP_1) | instskip(SKIP_1) | instid1(VALU_DEP_2)
	v_subrev_nc_u32_e32 v46, 28, v118
	v_sub_nc_u32_e32 v118, 29, v118
	v_lshlrev_b64_e32 v[2:3], v46, v[2:3]
	s_delay_alu instid0(VALU_DEP_1)
	v_and_b32_e32 v2, 7, v2
; %bb.913:                              ;   in Loop: Header=BB4_569 Depth=2
	s_or_b32 exec_lo, exec_lo, s21
	s_delay_alu instid0(VALU_DEP_1) | instskip(SKIP_1) | instid1(VALU_DEP_2)
	v_dual_lshlrev_b32 v3, 24, v5 :: v_dual_lshlrev_b32 v2, 20, v2
	v_lshl_add_u32 v5, v118, 23, 0x3c000000
	v_and_b32_e32 v3, 0x80000000, v3
	s_delay_alu instid0(VALU_DEP_1)
	v_or3_b32 v46, v2, v3, v5
.LBB4_914:                              ;   in Loop: Header=BB4_569 Depth=2
	s_or_b32 exec_lo, exec_lo, s20
.LBB4_915:                              ;   in Loop: Header=BB4_569 Depth=2
	s_delay_alu instid0(SALU_CYCLE_1)
	s_or_b32 exec_lo, exec_lo, s19
.LBB4_916:                              ;   in Loop: Header=BB4_569 Depth=2
	s_delay_alu instid0(SALU_CYCLE_1) | instskip(NEXT) | instid1(VALU_DEP_1)
	s_or_b32 exec_lo, exec_lo, s18
	v_dual_max_num_f32 v2, v46, v46 :: v_dual_max_num_f32 v3, v119, v119
	s_delay_alu instid0(VALU_DEP_1)
	v_min_num_f32_e32 v2, v3, v2
.LBB4_917:                              ;   in Loop: Header=BB4_569 Depth=2
	s_or_b32 exec_lo, exec_lo, s8
	s_delay_alu instid0(VALU_DEP_1) | instskip(SKIP_1) | instid1(VALU_DEP_1)
	v_and_b32_e32 v118, 0x7f800000, v2
	v_dual_mov_b32 v119, v55 :: v_dual_lshrrev_b32 v3, 24, v2
	v_cmp_ne_u64_e32 vcc_lo, 0x7f800000, v[118:119]
                                        ; implicit-def: $vgpr118
	s_and_saveexec_b32 s8, vcc_lo
	s_delay_alu instid0(SALU_CYCLE_1)
	s_xor_b32 s18, exec_lo, s8
	s_cbranch_execz .LBB4_931
; %bb.918:                              ;   in Loop: Header=BB4_569 Depth=2
	v_and_b32_e32 v118, 0x7fffffff, v2
	v_mov_b32_e32 v119, v55
	v_and_b32_e32 v5, 0x80, v3
	s_delay_alu instid0(VALU_DEP_2) | instskip(SKIP_1) | instid1(SALU_CYCLE_1)
	v_cmp_gt_u64_e32 vcc_lo, 0x43e00001, v[118:119]
                                        ; implicit-def: $vgpr118
	s_and_saveexec_b32 s8, vcc_lo
	s_xor_b32 s19, exec_lo, s8
	s_cbranch_execz .LBB4_928
; %bb.919:                              ;   in Loop: Header=BB4_569 Depth=2
	v_mov_b32_e32 v118, 0
	s_mov_b32 s20, exec_lo
	v_cmpx_ne_u32_e32 0, v2
	s_cbranch_execz .LBB4_927
; %bb.920:                              ;   in Loop: Header=BB4_569 Depth=2
	v_bfe_u32 v46, v2, 23, 8
	v_and_b32_e32 v118, 0x7fffff, v2
	s_mov_b32 s21, exec_lo
	s_delay_alu instid0(VALU_DEP_2) | instskip(SKIP_1) | instid1(VALU_DEP_3)
	v_sub_nc_u32_e32 v3, 0x79, v46
	v_cmp_gt_u32_e32 vcc_lo, 0x7a, v46
	v_or_b32_e32 v119, 0x800000, v118
	s_delay_alu instid0(VALU_DEP_3) | instskip(SKIP_1) | instid1(VALU_DEP_3)
	v_cndmask_b32_e32 v3, 0, v3, vcc_lo
	v_cmp_eq_u32_e32 vcc_lo, 0, v46
	v_cndmask_b32_e32 v118, v119, v118, vcc_lo
	s_delay_alu instid0(VALU_DEP_3) | instskip(NEXT) | instid1(VALU_DEP_1)
	v_cndmask_b32_e64 v47, v3, 0x78, vcc_lo
	v_dual_mov_b32 v119, v55 :: v_dual_add_nc_u32 v2, 20, v47
	v_add_nc_u32_e32 v58, 19, v47
	s_delay_alu instid0(VALU_DEP_2) | instskip(NEXT) | instid1(VALU_DEP_2)
	v_lshlrev_b64_e64 v[2:3], v2, -1
	v_lshlrev_b64_e64 v[58:59], v58, 1
	s_delay_alu instid0(VALU_DEP_2) | instskip(NEXT) | instid1(VALU_DEP_3)
	v_bfi_b32 v61, v3, 0, 0
	v_bfi_b32 v60, v2, 0, v118
	v_lshrrev_b64 v[2:3], v47, v[118:119]
	s_delay_alu instid0(VALU_DEP_1) | instskip(NEXT) | instid1(VALU_DEP_3)
	v_mov_b64_e32 v[118:119], v[2:3]
	v_cmpx_eq_u64_e64 v[60:61], v[58:59]
; %bb.921:                              ;   in Loop: Header=BB4_569 Depth=2
	v_bfe_u32 v118, v2, 20, 1
	v_mov_b32_e32 v119, v55
	s_delay_alu instid0(VALU_DEP_1) | instskip(NEXT) | instid1(VALU_DEP_1)
	v_add_nc_u64_e32 v[118:119], v[2:3], v[118:119]
	v_add_nc_u64_e32 v[118:119], -1, v[118:119]
; %bb.922:                              ;   in Loop: Header=BB4_569 Depth=2
	s_or_b32 exec_lo, exec_lo, s21
	v_add_nc_u32_e32 v3, 0xffffff81, v46
	v_lshrrev_b32_e32 v119, 23, v2
	s_mov_b32 s8, exec_lo
	s_delay_alu instid0(VALU_DEP_2) | instskip(NEXT) | instid1(VALU_DEP_1)
	v_cndmask_b32_e64 v3, v3, 0xffffff82, vcc_lo
	v_add3_u32 v119, v47, v3, v119
	v_and_b32_e32 v3, 0xfffff, v118
                                        ; implicit-def: $vgpr118
	s_delay_alu instid0(VALU_DEP_1) | instskip(SKIP_1) | instid1(VALU_DEP_2)
	v_dual_add_nc_u32 v46, 6, v119 :: v_dual_add_nc_u32 v2, v3, v2
	v_mov_b32_e32 v3, v55
	v_cmpx_ne_u32_e32 0, v46
	s_xor_b32 s8, exec_lo, s8
; %bb.923:                              ;   in Loop: Header=BB4_569 Depth=2
	s_delay_alu instid0(VALU_DEP_2) | instskip(SKIP_2) | instid1(VALU_DEP_2)
	v_cmp_lt_u64_e32 vcc_lo, 0xffffff, v[2:3]
	v_add_nc_u32_e32 v118, 7, v119
	v_cndmask_b32_e64 v119, 0, 1, vcc_lo
	v_cndmask_b32_e32 v118, v46, v118, vcc_lo
	s_delay_alu instid0(VALU_DEP_2)
	v_lshrrev_b64 v[2:3], v119, v[2:3]
; %bb.924:                              ;   in Loop: Header=BB4_569 Depth=2
	s_and_not1_saveexec_b32 s8, s8
; %bb.925:                              ;   in Loop: Header=BB4_569 Depth=2
	s_delay_alu instid0(VALU_DEP_1)
	v_bfe_u32 v118, v2, 23, 1
; %bb.926:                              ;   in Loop: Header=BB4_569 Depth=2
	s_or_b32 exec_lo, exec_lo, s8
	s_delay_alu instid0(VALU_DEP_2) | instskip(NEXT) | instid1(VALU_DEP_2)
	v_lshrrev_b64 v[2:3], 20, v[2:3]
	v_cmp_gt_i32_e32 vcc_lo, 16, v118
	v_min_i32_e32 v119, 15, v118
	v_cmp_eq_u32_e64 s8, 0, v118
	s_delay_alu instid0(VALU_DEP_4) | instskip(NEXT) | instid1(VALU_DEP_3)
	v_cndmask_b32_e32 v3, 0, v3, vcc_lo
	v_dual_cndmask_b32 v2, 7, v2 :: v_dual_lshlrev_b32 v119, 3, v119
	s_delay_alu instid0(VALU_DEP_1) | instskip(NEXT) | instid1(VALU_DEP_2)
	v_and_b32_e32 v119, 0xf8, v119
	v_cmp_eq_u64_e32 vcc_lo, 0, v[2:3]
	s_delay_alu instid0(VALU_DEP_2)
	v_and_or_b32 v2, v2, 7, v119
	s_and_b32 s8, s8, vcc_lo
	s_delay_alu instid0(VALU_DEP_1) | instid1(SALU_CYCLE_1)
	v_cndmask_b32_e64 v2, v2, 0, s8
	s_delay_alu instid0(VALU_DEP_1)
	v_or_b32_e32 v118, v2, v5
.LBB4_927:                              ;   in Loop: Header=BB4_569 Depth=2
	s_or_b32 exec_lo, exec_lo, s20
                                        ; implicit-def: $vgpr5
.LBB4_928:                              ;   in Loop: Header=BB4_569 Depth=2
	s_and_not1_saveexec_b32 s8, s19
; %bb.929:                              ;   in Loop: Header=BB4_569 Depth=2
	v_or_b32_e32 v118, 0x7e, v5
; %bb.930:                              ;   in Loop: Header=BB4_569 Depth=2
	s_or_b32 exec_lo, exec_lo, s8
                                        ; implicit-def: $vgpr3
.LBB4_931:                              ;   in Loop: Header=BB4_569 Depth=2
	s_and_not1_saveexec_b32 s8, s18
; %bb.932:                              ;   in Loop: Header=BB4_569 Depth=2
	v_or_b32_e32 v118, 0x7f, v3
; %bb.933:                              ;   in Loop: Header=BB4_569 Depth=2
	s_or_b32 exec_lo, exec_lo, s8
	v_and_b32_e32 v2, 0xff000000, v4
	v_dual_mov_b32 v3, v55 :: v_dual_lshrrev_b32 v46, 24, v4
	v_lshrrev_b32_e32 v119, 24, v54
	s_delay_alu instid0(VALU_DEP_2) | instskip(SKIP_1) | instid1(SALU_CYCLE_1)
	v_cmp_ne_u64_e32 vcc_lo, 0, v[2:3]
                                        ; implicit-def: $vgpr2
	s_and_saveexec_b32 s8, s6
	s_xor_b32 s18, exec_lo, s8
	s_cbranch_execz .LBB4_951
; %bb.934:                              ;   in Loop: Header=BB4_569 Depth=2
	v_dual_mov_b32 v5, 0 :: v_dual_mov_b32 v2, 0
	s_and_saveexec_b32 s19, vcc_lo
	s_cbranch_execz .LBB4_942
; %bb.935:                              ;   in Loop: Header=BB4_569 Depth=2
	v_bfrev_b32_e32 v2, 1
	s_mov_b32 s20, exec_lo
	v_cmpx_ne_u32_e32 0x80, v46
	s_cbranch_execz .LBB4_941
; %bb.936:                              ;   in Loop: Header=BB4_569 Depth=2
	v_bfe_u32 v47, v4, 24, 7
	v_mov_b32_e32 v2, 0x7f800001
	s_mov_b32 s21, exec_lo
	s_delay_alu instid0(VALU_DEP_2)
	v_cmpx_ne_u32_e32 0x7f, v47
	s_cbranch_execz .LBB4_940
; %bb.937:                              ;   in Loop: Header=BB4_569 Depth=2
	v_dual_mov_b32 v3, v55 :: v_dual_bitop2_b32 v2, 7, v46 bitop3:0x40
	v_lshrrev_b32_e32 v4, 3, v47
	s_mov_b32 s22, exec_lo
	v_cmpx_gt_u32_e32 8, v47
; %bb.938:                              ;   in Loop: Header=BB4_569 Depth=2
	s_delay_alu instid0(VALU_DEP_3) | instskip(NEXT) | instid1(VALU_DEP_1)
	v_clz_i32_u32_e32 v4, v2
	v_min_u32_e32 v4, 32, v4
	s_delay_alu instid0(VALU_DEP_1) | instskip(NEXT) | instid1(VALU_DEP_1)
	v_subrev_nc_u32_e32 v47, 28, v4
	v_lshlrev_b64_e32 v[2:3], v47, v[2:3]
	s_delay_alu instid0(VALU_DEP_1)
	v_dual_sub_nc_u32 v4, 29, v4 :: v_dual_bitop2_b32 v2, 7, v2 bitop3:0x40
; %bb.939:                              ;   in Loop: Header=BB4_569 Depth=2
	s_or_b32 exec_lo, exec_lo, s22
	v_lshlrev_b32_e32 v3, 24, v46
	s_delay_alu instid0(VALU_DEP_2) | instskip(NEXT) | instid1(VALU_DEP_3)
	v_lshlrev_b32_e32 v2, 20, v2
	v_lshl_add_u32 v4, v4, 23, 0x3c000000
	s_delay_alu instid0(VALU_DEP_3) | instskip(NEXT) | instid1(VALU_DEP_1)
	v_and_b32_e32 v3, 0x80000000, v3
	v_or3_b32 v2, v2, v3, v4
.LBB4_940:                              ;   in Loop: Header=BB4_569 Depth=2
	s_or_b32 exec_lo, exec_lo, s21
.LBB4_941:                              ;   in Loop: Header=BB4_569 Depth=2
	s_delay_alu instid0(SALU_CYCLE_1)
	s_or_b32 exec_lo, exec_lo, s20
.LBB4_942:                              ;   in Loop: Header=BB4_569 Depth=2
	s_delay_alu instid0(SALU_CYCLE_1) | instskip(NEXT) | instid1(SALU_CYCLE_1)
	s_or_b32 exec_lo, exec_lo, s19
	s_mov_b32 s19, exec_lo
	v_cmpx_lt_u32_e32 0xffffff, v54
	s_cbranch_execz .LBB4_950
; %bb.943:                              ;   in Loop: Header=BB4_569 Depth=2
	v_bfrev_b32_e32 v5, 1
	s_mov_b32 s20, exec_lo
	v_cmpx_ne_u32_e32 0x80, v119
	s_cbranch_execz .LBB4_949
; %bb.944:                              ;   in Loop: Header=BB4_569 Depth=2
	v_bfe_u32 v4, v54, 24, 7
	v_mov_b32_e32 v5, 0x7f800001
	s_mov_b32 s21, exec_lo
	s_delay_alu instid0(VALU_DEP_2)
	v_cmpx_ne_u32_e32 0x7f, v4
	s_cbranch_execz .LBB4_948
; %bb.945:                              ;   in Loop: Header=BB4_569 Depth=2
	v_dual_lshrrev_b32 v3, 3, v4 :: v_dual_bitop2_b32 v54, 7, v119 bitop3:0x40
	s_mov_b32 s22, exec_lo
	v_cmpx_gt_u32_e32 8, v4
; %bb.946:                              ;   in Loop: Header=BB4_569 Depth=2
	s_delay_alu instid0(VALU_DEP_2) | instskip(NEXT) | instid1(VALU_DEP_1)
	v_clz_i32_u32_e32 v3, v54
	v_min_u32_e32 v3, 32, v3
	s_delay_alu instid0(VALU_DEP_1) | instskip(NEXT) | instid1(VALU_DEP_1)
	v_subrev_nc_u32_e32 v4, 28, v3
	v_lshlrev_b64_e32 v[4:5], v4, v[54:55]
	s_delay_alu instid0(VALU_DEP_1)
	v_dual_sub_nc_u32 v3, 29, v3 :: v_dual_bitop2_b32 v54, 7, v4 bitop3:0x40
; %bb.947:                              ;   in Loop: Header=BB4_569 Depth=2
	s_or_b32 exec_lo, exec_lo, s22
	s_delay_alu instid0(VALU_DEP_1) | instskip(NEXT) | instid1(VALU_DEP_2)
	v_dual_lshlrev_b32 v4, 24, v119 :: v_dual_lshlrev_b32 v5, 20, v54
	v_lshl_add_u32 v3, v3, 23, 0x3c000000
	s_delay_alu instid0(VALU_DEP_2) | instskip(NEXT) | instid1(VALU_DEP_1)
	v_and_b32_e32 v4, 0x80000000, v4
	v_or3_b32 v5, v5, v4, v3
.LBB4_948:                              ;   in Loop: Header=BB4_569 Depth=2
	s_or_b32 exec_lo, exec_lo, s21
.LBB4_949:                              ;   in Loop: Header=BB4_569 Depth=2
	s_delay_alu instid0(SALU_CYCLE_1)
	s_or_b32 exec_lo, exec_lo, s20
.LBB4_950:                              ;   in Loop: Header=BB4_569 Depth=2
	s_delay_alu instid0(SALU_CYCLE_1) | instskip(NEXT) | instid1(VALU_DEP_1)
	s_or_b32 exec_lo, exec_lo, s19
	v_dual_max_num_f32 v3, v5, v5 :: v_dual_max_num_f32 v2, v2, v2
                                        ; implicit-def: $vgpr119
                                        ; implicit-def: $vgpr46
                                        ; implicit-def: $vgpr4_vgpr5
	s_delay_alu instid0(VALU_DEP_1)
	v_max_num_f32_e32 v2, v2, v3
.LBB4_951:                              ;   in Loop: Header=BB4_569 Depth=2
	s_and_not1_saveexec_b32 s8, s18
	s_cbranch_execz .LBB4_969
; %bb.952:                              ;   in Loop: Header=BB4_569 Depth=2
	v_dual_mov_b32 v5, 0 :: v_dual_mov_b32 v2, 0
	s_and_saveexec_b32 s18, vcc_lo
	s_cbranch_execz .LBB4_960
; %bb.953:                              ;   in Loop: Header=BB4_569 Depth=2
	v_bfrev_b32_e32 v2, 1
	s_mov_b32 s19, exec_lo
	v_cmpx_ne_u32_e32 0x80, v46
	s_cbranch_execz .LBB4_959
; %bb.954:                              ;   in Loop: Header=BB4_569 Depth=2
	v_bfe_u32 v47, v4, 24, 7
	v_mov_b32_e32 v2, 0x7f800001
	s_mov_b32 s20, exec_lo
	s_delay_alu instid0(VALU_DEP_2)
	v_cmpx_ne_u32_e32 0x7f, v47
	s_cbranch_execz .LBB4_958
; %bb.955:                              ;   in Loop: Header=BB4_569 Depth=2
	v_dual_mov_b32 v3, v55 :: v_dual_bitop2_b32 v2, 7, v46 bitop3:0x40
	v_lshrrev_b32_e32 v4, 3, v47
	s_mov_b32 s21, exec_lo
	v_cmpx_gt_u32_e32 8, v47
; %bb.956:                              ;   in Loop: Header=BB4_569 Depth=2
	s_delay_alu instid0(VALU_DEP_3) | instskip(NEXT) | instid1(VALU_DEP_1)
	v_clz_i32_u32_e32 v4, v2
	v_min_u32_e32 v4, 32, v4
	s_delay_alu instid0(VALU_DEP_1) | instskip(NEXT) | instid1(VALU_DEP_1)
	v_subrev_nc_u32_e32 v47, 28, v4
	v_lshlrev_b64_e32 v[2:3], v47, v[2:3]
	s_delay_alu instid0(VALU_DEP_1)
	v_dual_sub_nc_u32 v4, 29, v4 :: v_dual_bitop2_b32 v2, 7, v2 bitop3:0x40
; %bb.957:                              ;   in Loop: Header=BB4_569 Depth=2
	s_or_b32 exec_lo, exec_lo, s21
	v_lshlrev_b32_e32 v3, 24, v46
	s_delay_alu instid0(VALU_DEP_2) | instskip(NEXT) | instid1(VALU_DEP_3)
	v_lshlrev_b32_e32 v2, 20, v2
	v_lshl_add_u32 v4, v4, 23, 0x3c000000
	s_delay_alu instid0(VALU_DEP_3) | instskip(NEXT) | instid1(VALU_DEP_1)
	v_and_b32_e32 v3, 0x80000000, v3
	v_or3_b32 v2, v2, v3, v4
.LBB4_958:                              ;   in Loop: Header=BB4_569 Depth=2
	s_or_b32 exec_lo, exec_lo, s20
.LBB4_959:                              ;   in Loop: Header=BB4_569 Depth=2
	s_delay_alu instid0(SALU_CYCLE_1)
	s_or_b32 exec_lo, exec_lo, s19
.LBB4_960:                              ;   in Loop: Header=BB4_569 Depth=2
	s_delay_alu instid0(SALU_CYCLE_1) | instskip(NEXT) | instid1(SALU_CYCLE_1)
	s_or_b32 exec_lo, exec_lo, s18
	s_mov_b32 s18, exec_lo
	v_cmpx_lt_u32_e32 0xffffff, v54
	s_cbranch_execz .LBB4_968
; %bb.961:                              ;   in Loop: Header=BB4_569 Depth=2
	v_bfrev_b32_e32 v5, 1
	s_mov_b32 s19, exec_lo
	v_cmpx_ne_u32_e32 0x80, v119
	s_cbranch_execz .LBB4_967
; %bb.962:                              ;   in Loop: Header=BB4_569 Depth=2
	v_bfe_u32 v4, v54, 24, 7
	v_mov_b32_e32 v5, 0x7f800001
	s_mov_b32 s20, exec_lo
	s_delay_alu instid0(VALU_DEP_2)
	v_cmpx_ne_u32_e32 0x7f, v4
	s_cbranch_execz .LBB4_966
; %bb.963:                              ;   in Loop: Header=BB4_569 Depth=2
	v_dual_lshrrev_b32 v3, 3, v4 :: v_dual_bitop2_b32 v54, 7, v119 bitop3:0x40
	s_mov_b32 s21, exec_lo
	v_cmpx_gt_u32_e32 8, v4
; %bb.964:                              ;   in Loop: Header=BB4_569 Depth=2
	s_delay_alu instid0(VALU_DEP_2) | instskip(NEXT) | instid1(VALU_DEP_1)
	v_clz_i32_u32_e32 v3, v54
	v_min_u32_e32 v3, 32, v3
	s_delay_alu instid0(VALU_DEP_1) | instskip(NEXT) | instid1(VALU_DEP_1)
	v_subrev_nc_u32_e32 v4, 28, v3
	v_lshlrev_b64_e32 v[4:5], v4, v[54:55]
	s_delay_alu instid0(VALU_DEP_1)
	v_dual_sub_nc_u32 v3, 29, v3 :: v_dual_bitop2_b32 v54, 7, v4 bitop3:0x40
; %bb.965:                              ;   in Loop: Header=BB4_569 Depth=2
	s_or_b32 exec_lo, exec_lo, s21
	s_delay_alu instid0(VALU_DEP_1) | instskip(NEXT) | instid1(VALU_DEP_2)
	v_dual_lshlrev_b32 v4, 24, v119 :: v_dual_lshlrev_b32 v5, 20, v54
	v_lshl_add_u32 v3, v3, 23, 0x3c000000
	s_delay_alu instid0(VALU_DEP_2) | instskip(NEXT) | instid1(VALU_DEP_1)
	v_and_b32_e32 v4, 0x80000000, v4
	v_or3_b32 v5, v5, v4, v3
.LBB4_966:                              ;   in Loop: Header=BB4_569 Depth=2
	s_or_b32 exec_lo, exec_lo, s20
.LBB4_967:                              ;   in Loop: Header=BB4_569 Depth=2
	s_delay_alu instid0(SALU_CYCLE_1)
	s_or_b32 exec_lo, exec_lo, s19
.LBB4_968:                              ;   in Loop: Header=BB4_569 Depth=2
	s_delay_alu instid0(SALU_CYCLE_1) | instskip(NEXT) | instid1(VALU_DEP_1)
	s_or_b32 exec_lo, exec_lo, s18
	v_dual_max_num_f32 v3, v5, v5 :: v_dual_max_num_f32 v2, v2, v2
	s_delay_alu instid0(VALU_DEP_1)
	v_min_num_f32_e32 v2, v2, v3
.LBB4_969:                              ;   in Loop: Header=BB4_569 Depth=2
	s_or_b32 exec_lo, exec_lo, s8
	s_delay_alu instid0(VALU_DEP_1) | instskip(SKIP_2) | instid1(VALU_DEP_2)
	v_and_b32_e32 v54, 0x7f800000, v2
	v_lshrrev_b32_e32 v4, 24, v2
                                        ; implicit-def: $vgpr3
	s_mov_b32 s8, exec_lo
	v_cmpx_ne_u64_e32 0x7f800000, v[54:55]
	s_xor_b32 s18, exec_lo, s8
	s_cbranch_execz .LBB4_983
; %bb.970:                              ;   in Loop: Header=BB4_569 Depth=2
	v_and_b32_e32 v54, 0x7fffffff, v2
	v_and_b32_e32 v119, 0x80, v4
                                        ; implicit-def: $vgpr3
	s_mov_b32 s8, exec_lo
	s_delay_alu instid0(VALU_DEP_2)
	v_cmpx_gt_u64_e32 0x43e00001, v[54:55]
	s_xor_b32 s19, exec_lo, s8
	s_cbranch_execz .LBB4_980
; %bb.971:                              ;   in Loop: Header=BB4_569 Depth=2
	v_mov_b32_e32 v3, 0
	s_mov_b32 s20, exec_lo
	v_cmpx_ne_u32_e32 0, v2
	s_cbranch_execz .LBB4_979
; %bb.972:                              ;   in Loop: Header=BB4_569 Depth=2
	v_bfe_u32 v46, v2, 23, 8
	v_and_b32_e32 v4, 0x7fffff, v2
	s_delay_alu instid0(VALU_DEP_2) | instskip(NEXT) | instid1(VALU_DEP_2)
	v_cmp_gt_u32_e32 vcc_lo, 0x7a, v46
	v_or_b32_e32 v5, 0x800000, v4
	v_sub_nc_u32_e32 v3, 0x79, v46
	s_delay_alu instid0(VALU_DEP_1) | instskip(SKIP_1) | instid1(VALU_DEP_2)
	v_cndmask_b32_e32 v3, 0, v3, vcc_lo
	v_cmp_eq_u32_e32 vcc_lo, 0, v46
	v_cndmask_b32_e64 v47, v3, 0x78, vcc_lo
	s_delay_alu instid0(VALU_DEP_1) | instskip(SKIP_1) | instid1(VALU_DEP_2)
	v_dual_cndmask_b32 v54, v5, v4, vcc_lo :: v_dual_add_nc_u32 v2, 20, v47
	v_add_nc_u32_e32 v58, 19, v47
	v_lshlrev_b64_e64 v[2:3], v2, -1
	s_delay_alu instid0(VALU_DEP_2) | instskip(NEXT) | instid1(VALU_DEP_2)
	v_lshlrev_b64_e64 v[4:5], v58, 1
	v_bfi_b32 v59, v3, 0, 0
	s_delay_alu instid0(VALU_DEP_3) | instskip(SKIP_1) | instid1(VALU_DEP_2)
	v_bfi_b32 v58, v2, 0, v54
	v_lshrrev_b64 v[2:3], v47, v[54:55]
	v_cmp_eq_u64_e64 s8, v[58:59], v[4:5]
	s_delay_alu instid0(VALU_DEP_2)
	v_mov_b64_e32 v[4:5], v[2:3]
	s_and_saveexec_b32 s21, s8
; %bb.973:                              ;   in Loop: Header=BB4_569 Depth=2
	v_bfe_u32 v54, v2, 20, 1
	s_delay_alu instid0(VALU_DEP_1) | instskip(NEXT) | instid1(VALU_DEP_1)
	v_add_nc_u64_e32 v[4:5], v[2:3], v[54:55]
	v_add_nc_u64_e32 v[4:5], -1, v[4:5]
; %bb.974:                              ;   in Loop: Header=BB4_569 Depth=2
	s_or_b32 exec_lo, exec_lo, s21
	v_add_nc_u32_e32 v3, 0xffffff81, v46
	v_lshrrev_b32_e32 v5, 23, v2
	s_mov_b32 s8, exec_lo
	s_delay_alu instid0(VALU_DEP_2) | instskip(NEXT) | instid1(VALU_DEP_1)
	v_cndmask_b32_e64 v3, v3, 0xffffff82, vcc_lo
	v_add3_u32 v5, v47, v3, v5
	v_and_b32_e32 v3, 0xfffff, v4
                                        ; implicit-def: $vgpr4
	s_delay_alu instid0(VALU_DEP_1) | instskip(NEXT) | instid1(VALU_DEP_1)
	v_dual_add_nc_u32 v46, 6, v5 :: v_dual_add_nc_u32 v54, v3, v2
                                        ; implicit-def: $vgpr2_vgpr3
	v_cmpx_ne_u32_e32 0, v46
	s_xor_b32 s8, exec_lo, s8
; %bb.975:                              ;   in Loop: Header=BB4_569 Depth=2
	s_delay_alu instid0(VALU_DEP_2) | instskip(SKIP_1) | instid1(VALU_DEP_1)
	v_cmp_lt_u64_e32 vcc_lo, 0xffffff, v[54:55]
	v_add_nc_u32_e32 v2, 7, v5
	v_cndmask_b32_e32 v4, v46, v2, vcc_lo
	v_cndmask_b32_e64 v2, 0, 1, vcc_lo
	s_delay_alu instid0(VALU_DEP_1)
	v_lshrrev_b64 v[2:3], v2, v[54:55]
; %bb.976:                              ;   in Loop: Header=BB4_569 Depth=2
	s_and_not1_saveexec_b32 s8, s8
; %bb.977:                              ;   in Loop: Header=BB4_569 Depth=2
	v_mov_b64_e32 v[2:3], v[54:55]
	v_bfe_u32 v4, v54, 23, 1
; %bb.978:                              ;   in Loop: Header=BB4_569 Depth=2
	s_or_b32 exec_lo, exec_lo, s8
	s_delay_alu instid0(VALU_DEP_2) | instskip(NEXT) | instid1(VALU_DEP_2)
	v_lshrrev_b64 v[2:3], 20, v[2:3]
	v_cmp_gt_i32_e32 vcc_lo, 16, v4
	v_min_i32_e32 v5, 15, v4
	v_cmp_eq_u32_e64 s8, 0, v4
	s_delay_alu instid0(VALU_DEP_2) | instskip(SKIP_1) | instid1(VALU_DEP_2)
	v_dual_cndmask_b32 v3, 0, v3, vcc_lo :: v_dual_lshlrev_b32 v5, 3, v5
	v_cndmask_b32_e32 v2, 7, v2, vcc_lo
	v_and_b32_e32 v5, 0xf8, v5
	s_delay_alu instid0(VALU_DEP_2) | instskip(NEXT) | instid1(VALU_DEP_2)
	v_cmp_eq_u64_e32 vcc_lo, 0, v[2:3]
	v_and_or_b32 v2, v2, 7, v5
	s_and_b32 s8, s8, vcc_lo
	s_delay_alu instid0(VALU_DEP_1) | instid1(SALU_CYCLE_1)
	v_cndmask_b32_e64 v2, v2, 0, s8
	s_delay_alu instid0(VALU_DEP_1)
	v_or_b32_e32 v3, v2, v119
.LBB4_979:                              ;   in Loop: Header=BB4_569 Depth=2
	s_or_b32 exec_lo, exec_lo, s20
                                        ; implicit-def: $vgpr119
.LBB4_980:                              ;   in Loop: Header=BB4_569 Depth=2
	s_and_not1_saveexec_b32 s8, s19
; %bb.981:                              ;   in Loop: Header=BB4_569 Depth=2
	v_or_b32_e32 v3, 0x7e, v119
; %bb.982:                              ;   in Loop: Header=BB4_569 Depth=2
	s_or_b32 exec_lo, exec_lo, s8
                                        ; implicit-def: $vgpr4
.LBB4_983:                              ;   in Loop: Header=BB4_569 Depth=2
	s_and_not1_saveexec_b32 s8, s18
; %bb.984:                              ;   in Loop: Header=BB4_569 Depth=2
	v_or_b32_e32 v3, 0x7f, v4
; %bb.985:                              ;   in Loop: Header=BB4_569 Depth=2
	s_or_b32 exec_lo, exec_lo, s8
	v_dual_lshlrev_b32 v2, 16, v40 :: v_dual_lshlrev_b32 v4, 16, v118
	s_delay_alu instid0(VALU_DEP_2) | instskip(SKIP_1) | instid1(VALU_DEP_3)
	v_dual_lshlrev_b32 v5, 24, v41 :: v_dual_lshlrev_b32 v3, 24, v3
	v_cmp_lt_u32_e32 vcc_lo, 7, v57
	v_lshl_or_b32 v2, v43, 8, v2
	s_delay_alu instid0(VALU_DEP_4) | instskip(SKIP_2) | instid1(VALU_DEP_2)
	v_lshl_or_b32 v4, v45, 8, v4
	s_mov_b32 s8, -1
	s_cmp_lg_u32 vcc_lo, exec_lo
	v_or3_b32 v2, v2, v5, v117
	s_delay_alu instid0(VALU_DEP_2)
	v_or3_b32 v3, v4, v3, v44
	s_cbranch_scc0 .LBB4_1001
; %bb.986:                              ;   in Loop: Header=BB4_569 Depth=2
	s_mov_b32 s18, exec_lo
	flat_store_b8 v[18:19], v117
	s_wait_xcnt 0x0
	v_cmpx_ne_u32_e32 1, v57
	s_cbranch_execz .LBB4_988
; %bb.987:                              ;   in Loop: Header=BB4_569 Depth=2
	v_lshrrev_b32_e32 v4, 8, v2
	flat_store_b8 v[18:19], v4 offset:1
.LBB4_988:                              ;   in Loop: Header=BB4_569 Depth=2
	s_wait_xcnt 0x0
	s_or_b32 exec_lo, exec_lo, s18
	s_delay_alu instid0(SALU_CYCLE_1)
	s_mov_b32 s18, exec_lo
	v_cmpx_lt_u32_e32 2, v57
	s_cbranch_execz .LBB4_990
; %bb.989:                              ;   in Loop: Header=BB4_569 Depth=2
	flat_store_d16_hi_b8 v[18:19], v2 offset:2
.LBB4_990:                              ;   in Loop: Header=BB4_569 Depth=2
	s_wait_xcnt 0x0
	s_or_b32 exec_lo, exec_lo, s18
	s_delay_alu instid0(SALU_CYCLE_1)
	s_mov_b32 s18, exec_lo
	v_cmpx_lt_u32_e32 3, v57
	s_cbranch_execz .LBB4_992
; %bb.991:                              ;   in Loop: Header=BB4_569 Depth=2
	v_lshrrev_b32_e32 v4, 24, v2
	flat_store_b8 v[18:19], v4 offset:3
.LBB4_992:                              ;   in Loop: Header=BB4_569 Depth=2
	s_wait_xcnt 0x0
	s_or_b32 exec_lo, exec_lo, s18
	s_delay_alu instid0(SALU_CYCLE_1)
	s_mov_b32 s18, exec_lo
	v_cmpx_lt_u32_e32 4, v57
	s_cbranch_execz .LBB4_994
; %bb.993:                              ;   in Loop: Header=BB4_569 Depth=2
	flat_store_b8 v[18:19], v44 offset:4
.LBB4_994:                              ;   in Loop: Header=BB4_569 Depth=2
	s_wait_xcnt 0x0
	s_or_b32 exec_lo, exec_lo, s18
	s_delay_alu instid0(SALU_CYCLE_1)
	s_mov_b32 s18, exec_lo
	v_cmpx_lt_u32_e32 5, v57
	s_cbranch_execz .LBB4_996
; %bb.995:                              ;   in Loop: Header=BB4_569 Depth=2
	v_lshrrev_b32_e32 v4, 8, v3
	flat_store_b8 v[18:19], v4 offset:5
.LBB4_996:                              ;   in Loop: Header=BB4_569 Depth=2
	s_wait_xcnt 0x0
	s_or_b32 exec_lo, exec_lo, s18
	s_delay_alu instid0(SALU_CYCLE_1)
	s_mov_b32 s18, exec_lo
	v_cmpx_lt_u32_e32 6, v57
	s_cbranch_execz .LBB4_998
; %bb.997:                              ;   in Loop: Header=BB4_569 Depth=2
	flat_store_d16_hi_b8 v[18:19], v3 offset:6
.LBB4_998:                              ;   in Loop: Header=BB4_569 Depth=2
	s_wait_xcnt 0x0
	s_or_b32 exec_lo, exec_lo, s18
	s_and_saveexec_b32 s8, vcc_lo
	s_cbranch_execz .LBB4_1000
; %bb.999:                              ;   in Loop: Header=BB4_569 Depth=2
	v_lshrrev_b32_e32 v4, 24, v3
	flat_store_b8 v[18:19], v4 offset:7
.LBB4_1000:                             ;   in Loop: Header=BB4_569 Depth=2
	s_wait_xcnt 0x0
	s_or_b32 exec_lo, exec_lo, s8
	s_mov_b32 s8, 0
.LBB4_1001:                             ;   in Loop: Header=BB4_569 Depth=2
	s_delay_alu instid0(SALU_CYCLE_1)
	s_and_b32 vcc_lo, exec_lo, s8
	s_cbranch_vccz .LBB4_568
; %bb.1002:                             ;   in Loop: Header=BB4_569 Depth=2
	global_store_b64 v[18:19], v[2:3], off
	s_branch .LBB4_568
.LBB4_1003:                             ;   in Loop: Header=BB4_36 Depth=1
	s_or_b32 exec_lo, exec_lo, s17
	s_delay_alu instid0(SALU_CYCLE_1)
	s_or_b32 exec_lo, exec_lo, s9
	s_and_saveexec_b32 s8, s3
	s_cbranch_execz .LBB4_566
.LBB4_1004:                             ;   in Loop: Header=BB4_36 Depth=1
	s_and_saveexec_b32 s9, s4
	s_delay_alu instid0(SALU_CYCLE_1)
	s_xor_b32 s9, exec_lo, s9
	s_cbranch_execz .LBB4_1019
; %bb.1005:                             ;   in Loop: Header=BB4_36 Depth=1
	s_and_saveexec_b32 s17, s5
	s_cbranch_execz .LBB4_1018
; %bb.1006:                             ;   in Loop: Header=BB4_36 Depth=1
	s_mov_b32 s19, exec_lo
	s_mov_b32 s18, exec_lo
	v_mbcnt_lo_u32_b32 v2, s19, 0
	global_wb scope:SCOPE_DEV
	s_wait_storecnt 0x0
	s_wait_loadcnt_dscnt 0x0
	global_inv scope:SCOPE_DEV
	v_cmpx_eq_u32_e32 0, v2
	s_cbranch_execz .LBB4_1008
; %bb.1007:                             ;   in Loop: Header=BB4_36 Depth=1
	s_bcnt1_i32_b32 s19, s19
	s_delay_alu instid0(SALU_CYCLE_1)
	v_mov_b32_e32 v54, s19
	s_wait_loadcnt 0x0
	ds_add_u64 v0, v[54:55]
	s_trap 2
.LBB4_1008:                             ;   in Loop: Header=BB4_36 Depth=1
	s_or_b32 exec_lo, exec_lo, s18
	s_trap 2
	ds_load_b64 v[2:3], v0
	s_wait_dscnt 0x0
	v_add_nc_u64_e32 v[52:53], v[52:53], v[82:83]
	s_mov_b32 s18, exec_lo
	s_delay_alu instid0(VALU_DEP_1)
	v_cmpx_lt_u64_e64 v[2:3], v[52:53]
	s_cbranch_execz .LBB4_1017
; %bb.1009:                             ;   in Loop: Header=BB4_36 Depth=1
	s_mov_b32 s19, 0
	s_mov_b32 s22, 0
                                        ; implicit-def: $sgpr20
                                        ; implicit-def: $sgpr21
	s_branch .LBB4_1011
.LBB4_1010:                             ;   in Loop: Header=BB4_1011 Depth=2
	s_or_b32 exec_lo, exec_lo, s24
	s_delay_alu instid0(SALU_CYCLE_1) | instskip(NEXT) | instid1(SALU_CYCLE_1)
	s_and_b32 s23, exec_lo, s25
	s_or_b32 s19, s23, s19
	s_and_not1_b32 s20, s20, exec_lo
	s_and_b32 s23, s21, exec_lo
	s_delay_alu instid0(SALU_CYCLE_1)
	s_or_b32 s20, s20, s23
	s_and_not1_b32 exec_lo, exec_lo, s19
	s_cbranch_execz .LBB4_1015
.LBB4_1011:                             ;   Parent Loop BB4_36 Depth=1
                                        ; =>  This Inner Loop Header: Depth=2
	s_add_co_i32 s22, s22, 1
	s_delay_alu instid0(SALU_CYCLE_1) | instskip(SKIP_1) | instid1(SALU_CYCLE_1)
	s_cmp_lg_u32 s22, 0x2710
	s_cselect_b32 s23, -1, 0
	s_and_b32 vcc_lo, exec_lo, s23
	s_cbranch_vccz .LBB4_1013
; %bb.1012:                             ;   in Loop: Header=BB4_1011 Depth=2
	s_mov_b32 s25, -1
	s_or_b32 s21, s21, exec_lo
	s_and_saveexec_b32 s24, s23
	s_cbranch_execz .LBB4_1010
	s_branch .LBB4_1014
.LBB4_1013:                             ;   in Loop: Header=BB4_1011 Depth=2
	s_trap 2
	ds_load_b64 v[2:3], v0
	s_and_not1_b32 s23, s23, exec_lo
	s_mov_b32 s22, 0
	s_wait_loadcnt_dscnt 0x0
	flat_load_b32 v2, v[2:3] scope:SCOPE_SYS
	s_wait_loadcnt_dscnt 0x0
	global_inv scope:SCOPE_SYS
	v_cmp_eq_u32_e32 vcc_lo, 0, v2
	s_and_b32 s24, vcc_lo, exec_lo
	s_delay_alu instid0(SALU_CYCLE_1)
	s_or_b32 s23, s23, s24
	s_mov_b32 s25, -1
	s_or_b32 s21, s21, exec_lo
	s_and_saveexec_b32 s24, s23
	s_cbranch_execz .LBB4_1010
.LBB4_1014:                             ;   in Loop: Header=BB4_1011 Depth=2
	s_sleep 1
	s_trap 2
	ds_load_b64 v[2:3], v0
	s_wait_dscnt 0x0
	s_and_not1_b32 s21, s21, exec_lo
	v_cmp_ge_u64_e32 vcc_lo, v[2:3], v[52:53]
	s_or_not1_b32 s25, vcc_lo, exec_lo
	s_branch .LBB4_1010
.LBB4_1015:                             ;   in Loop: Header=BB4_36 Depth=1
	s_or_b32 exec_lo, exec_lo, s19
	s_and_saveexec_b32 s19, s20
	s_delay_alu instid0(SALU_CYCLE_1)
	s_xor_b32 s19, exec_lo, s19
	s_cbranch_execz .LBB4_1017
; %bb.1016:                             ;   in Loop: Header=BB4_36 Depth=1
	ds_store_b32 v0, v1
	s_trap 2
.LBB4_1017:                             ;   in Loop: Header=BB4_36 Depth=1
	s_or_b32 exec_lo, exec_lo, s18
	;;#ASMSTART
	s_wakeup
	;;#ASMEND
.LBB4_1018:                             ;   in Loop: Header=BB4_36 Depth=1
	s_or_b32 exec_lo, exec_lo, s17
.LBB4_1019:                             ;   in Loop: Header=BB4_36 Depth=1
	s_and_not1_saveexec_b32 s9, s9
	s_cbranch_execz .LBB4_1021
; %bb.1020:                             ;   in Loop: Header=BB4_36 Depth=1
	global_wb scope:SCOPE_DEV
	s_wait_storecnt 0x0
	s_wait_loadcnt_dscnt 0x0
	global_inv scope:SCOPE_DEV
	s_barrier_signal -1
	s_barrier_wait -1
.LBB4_1021:                             ;   in Loop: Header=BB4_36 Depth=1
	s_or_b32 exec_lo, exec_lo, s9
	s_delay_alu instid0(SALU_CYCLE_1)
	s_or_b32 exec_lo, exec_lo, s8
	s_and_saveexec_b32 s8, s7
	s_cbranch_execz .LBB4_35
.LBB4_1022:                             ;   in Loop: Header=BB4_36 Depth=1
	v_add_nc_u64_e32 v[38:39], 1, v[38:39]
	global_wb scope:SCOPE_SYS
	s_wait_storecnt 0x0
	s_wait_loadcnt_dscnt 0x0
	flat_store_b64 v[48:49], v[38:39] scope:SCOPE_SYS
	s_branch .LBB4_35
.LBB4_1023:
	s_or_b32 exec_lo, exec_lo, s15
	s_delay_alu instid0(SALU_CYCLE_1)
	s_or_b32 exec_lo, exec_lo, s13
	s_and_saveexec_b32 s1, s12
	s_cbranch_execz .LBB4_20
.LBB4_1024:
	s_wait_dscnt 0x0
	flat_store_b64 v[28:29], v[38:39] offset:104
	s_wait_xcnt 0x0
	s_or_b32 exec_lo, exec_lo, s1
	s_and_saveexec_b32 s1, s0
	s_cbranch_execnz .LBB4_21
	s_branch .LBB4_22
.LBB4_1025:
	s_or_b32 exec_lo, exec_lo, s4
	s_and_saveexec_b32 s4, s5
	s_delay_alu instid0(SALU_CYCLE_1)
	s_xor_b32 s4, exec_lo, s4
	s_cbranch_execz .LBB4_1027
; %bb.1026:
	v_mov_b32_e32 v0, 1
	ds_store_b32 v0, v0
	s_trap 2
.LBB4_1027:
	s_or_b32 exec_lo, exec_lo, s3
	;;#ASMSTART
	s_wakeup
	;;#ASMEND
.LBB4_1028:
	s_or_b32 exec_lo, exec_lo, s2
.LBB4_1029:
	s_and_not1_saveexec_b32 s1, s1
	s_cbranch_execz .LBB4_1031
; %bb.1030:
	global_wb scope:SCOPE_DEV
	s_wait_storecnt 0x0
	s_wait_loadcnt_dscnt 0x0
	global_inv scope:SCOPE_DEV
	s_barrier_signal -1
	s_barrier_wait -1
.LBB4_1031:
	s_or_b32 exec_lo, exec_lo, s0
	s_clause 0x15
	scratch_load_b32 v77, off, s32
	scratch_load_b32 v76, off, s32 offset:4
	scratch_load_b32 v75, off, s32 offset:8
	scratch_load_b32 v74, off, s32 offset:12
	scratch_load_b32 v73, off, s32 offset:16
	scratch_load_b32 v72, off, s32 offset:20
	scratch_load_b32 v63, off, s32 offset:24
	scratch_load_b32 v62, off, s32 offset:28
	scratch_load_b32 v61, off, s32 offset:32
	scratch_load_b32 v60, off, s32 offset:36
	scratch_load_b32 v59, off, s32 offset:40
	scratch_load_b32 v58, off, s32 offset:44
	scratch_load_b32 v57, off, s32 offset:48
	scratch_load_b32 v56, off, s32 offset:52
	scratch_load_b32 v47, off, s32 offset:56
	scratch_load_b32 v46, off, s32 offset:60
	scratch_load_b32 v45, off, s32 offset:64
	scratch_load_b32 v44, off, s32 offset:68
	scratch_load_b32 v43, off, s32 offset:72
	scratch_load_b32 v42, off, s32 offset:76
	scratch_load_b32 v41, off, s32 offset:80
	scratch_load_b32 v40, off, s32 offset:84
	s_wait_loadcnt_dscnt 0x0
	s_set_pc_i64 s[30:31]
.Lfunc_end4:
	.size	_ZN12_GLOBAL__N_17runRingI14__hip_fp8_e4m310FuncMinMaxIS1_E7ProtoLLLi0ELi4ELi0EEEviiP15ncclDevWorkColl, .Lfunc_end4-_ZN12_GLOBAL__N_17runRingI14__hip_fp8_e4m310FuncMinMaxIS1_E7ProtoLLLi0ELi4ELi0EEEviiP15ncclDevWorkColl
                                        ; -- End function
	.set .L_ZN12_GLOBAL__N_17runRingI14__hip_fp8_e4m310FuncMinMaxIS1_E7ProtoLLLi0ELi4ELi0EEEviiP15ncclDevWorkColl.num_vgpr, 120
	.set .L_ZN12_GLOBAL__N_17runRingI14__hip_fp8_e4m310FuncMinMaxIS1_E7ProtoLLLi0ELi4ELi0EEEviiP15ncclDevWorkColl.num_agpr, 0
	.set .L_ZN12_GLOBAL__N_17runRingI14__hip_fp8_e4m310FuncMinMaxIS1_E7ProtoLLLi0ELi4ELi0EEEviiP15ncclDevWorkColl.numbered_sgpr, 33
	.set .L_ZN12_GLOBAL__N_17runRingI14__hip_fp8_e4m310FuncMinMaxIS1_E7ProtoLLLi0ELi4ELi0EEEviiP15ncclDevWorkColl.num_named_barrier, 0
	.set .L_ZN12_GLOBAL__N_17runRingI14__hip_fp8_e4m310FuncMinMaxIS1_E7ProtoLLLi0ELi4ELi0EEEviiP15ncclDevWorkColl.private_seg_size, 92
	.set .L_ZN12_GLOBAL__N_17runRingI14__hip_fp8_e4m310FuncMinMaxIS1_E7ProtoLLLi0ELi4ELi0EEEviiP15ncclDevWorkColl.uses_vcc, 1
	.set .L_ZN12_GLOBAL__N_17runRingI14__hip_fp8_e4m310FuncMinMaxIS1_E7ProtoLLLi0ELi4ELi0EEEviiP15ncclDevWorkColl.uses_flat_scratch, 1
	.set .L_ZN12_GLOBAL__N_17runRingI14__hip_fp8_e4m310FuncMinMaxIS1_E7ProtoLLLi0ELi4ELi0EEEviiP15ncclDevWorkColl.has_dyn_sized_stack, 0
	.set .L_ZN12_GLOBAL__N_17runRingI14__hip_fp8_e4m310FuncMinMaxIS1_E7ProtoLLLi0ELi4ELi0EEEviiP15ncclDevWorkColl.has_recursion, 0
	.set .L_ZN12_GLOBAL__N_17runRingI14__hip_fp8_e4m310FuncMinMaxIS1_E7ProtoLLLi0ELi4ELi0EEEviiP15ncclDevWorkColl.has_indirect_call, 0
	.section	.AMDGPU.csdata,"",@progbits
; Function info:
; codeLenInByte = 31944
; TotalNumSgprs: 35
; NumVgprs: 120
; ScratchSize: 92
; MemoryBound: 0
	.text
	.p2align	2                               ; -- Begin function _Z53ncclDevFunc_ReduceScatter_RING_LL_MinMax_f8e4m3_0_0_4v
	.type	_Z53ncclDevFunc_ReduceScatter_RING_LL_MinMax_f8e4m3_0_0_4v,@function
_Z53ncclDevFunc_ReduceScatter_RING_LL_MinMax_f8e4m3_0_0_4v: ; @_Z53ncclDevFunc_ReduceScatter_RING_LL_MinMax_f8e4m3_0_0_4v
; %bb.0:
	s_wait_loadcnt_dscnt 0x0
	s_wait_kmcnt 0x0
	s_mov_b32 s47, s33
	s_mov_b32 s33, s32
	s_or_saveexec_b32 s0, -1
	scratch_store_b32 off, v41, s33 offset:4 ; 4-byte Folded Spill
	s_wait_xcnt 0x0
	s_mov_b32 exec_lo, s0
	s_add_co_i32 s32, s32, 16
	scratch_store_b32 off, v40, s33         ; 4-byte Folded Spill
	v_writelane_b32 v41, s30, 0
	v_writelane_b32 v41, s31, 1
	s_trap 2
	ds_load_b32 v0, v0
	s_wait_xcnt 0x0
	v_and_b32_e32 v40, 0x3ff, v31
	s_mov_b32 s42, s12
	s_mov_b64 s[40:41], s[8:9]
	s_mov_b32 s2, exec_lo
	s_wait_dscnt 0x0
	v_cmpx_lt_i32_e64 v40, v0
	s_cbranch_execz .LBB5_5
; %bb.1:
	s_load_b32 s0, s[40:41], 0x0
	s_bfe_u32 s1, ttmp6, 0x4000c
	s_and_b32 s3, ttmp6, 15
	s_add_co_i32 s1, s1, 1
	s_getreg_b32 s4, hwreg(HW_REG_IB_STS2, 6, 4)
	s_mul_i32 s1, ttmp9, s1
	v_mov_b32_e32 v2, v40
	s_add_co_i32 s3, s3, s1
	s_cmp_eq_u32 s4, 0
                                        ; implicit-def: $vgpr3
	s_cselect_b32 s1, ttmp9, s3
	s_mov_b32 s3, 0
	s_wait_kmcnt 0x0
	s_cmp_lt_u32 s1, s0
	s_mov_b32 s1, 0
	s_cselect_b32 s0, 12, 18
	s_delay_alu instid0(SALU_CYCLE_1)
	s_add_nc_u64 s[4:5], s[40:41], s[0:1]
	s_load_u16 s0, s[4:5], 0x0
	s_trap 2
	ds_load_b32 v1, v0
	s_wait_dscnt 0x0
	s_wait_kmcnt 0x0
	v_mul_lo_u32 v1, v1, s0
	s_branch .LBB5_3
.LBB5_2:                                ;   in Loop: Header=BB5_3 Depth=1
	s_or_b32 exec_lo, exec_lo, s4
	v_dual_add_nc_u32 v2, s0, v2 :: v_dual_add_nc_u32 v3, v3, v1
	s_delay_alu instid0(VALU_DEP_1) | instskip(SKIP_1) | instid1(SALU_CYCLE_1)
	v_cmp_ge_i32_e32 vcc_lo, v2, v0
	s_or_b32 s3, vcc_lo, s3
	s_and_not1_b32 exec_lo, exec_lo, s3
	s_cbranch_execz .LBB5_5
.LBB5_3:                                ; =>This Inner Loop Header: Depth=1
	ds_load_b32 v4, v3
	s_mov_b32 s4, exec_lo
	s_wait_dscnt 0x0
	v_and_b32_e32 v4, 0x1000000, v4
	s_delay_alu instid0(VALU_DEP_1)
	v_cmpx_ne_u32_e32 0, v4
	s_cbranch_execz .LBB5_2
; %bb.4:                                ;   in Loop: Header=BB5_3 Depth=1
	ds_load_b64 v[4:5], v3 offset:104
	s_wait_dscnt 0x0
	flat_load_u8 v4, v[4:5]
	s_wait_xcnt 0x0
	v_mov_b32_e32 v5, s1
	s_wait_loadcnt_dscnt 0x0
	v_and_b32_e32 v4, 0xffff, v4
	ds_store_b64 v3, v[4:5] offset:104
	s_branch .LBB5_2
.LBB5_5:
	s_or_b32 exec_lo, exec_lo, s2
	s_wait_storecnt_dscnt 0x0
	s_barrier_signal -1
	s_barrier_wait -1
	s_trap 2
	ds_load_b32 v0, v0
	s_wait_dscnt 0x0
	v_cmp_gt_i32_e32 vcc_lo, 1, v0
	s_cbranch_vccnz .LBB5_13
; %bb.6:
	s_mov_b32 s43, 0
	s_get_pc_i64 s[44:45]
	s_add_nc_u64 s[44:45], s[44:45], _ZN12_GLOBAL__N_17runRingI14__hip_fp8_e4m310FuncMinMaxIS1_E7ProtoLLLi0ELi4ELi0EEEviiP15ncclDevWorkColl@rel64+4
	s_branch .LBB5_8
.LBB5_7:                                ;   in Loop: Header=BB5_8 Depth=1
	s_or_b32 exec_lo, exec_lo, s46
	s_trap 2
	ds_load_b32 v0, v0
	s_add_co_i32 s43, s43, 1
	s_wait_dscnt 0x0
	v_cmp_lt_i32_e32 vcc_lo, s43, v0
	s_cbranch_vccz .LBB5_13
.LBB5_8:                                ; =>This Inner Loop Header: Depth=1
	s_trap 2
	ds_load_b32 v0, v0
	s_cmp_eq_u32 s43, 0
	s_cbranch_scc1 .LBB5_11
; %bb.9:                                ;   in Loop: Header=BB5_8 Depth=1
	s_trap 2
	s_wait_dscnt 0x0
	ds_load_b32 v1, v0
	s_wait_dscnt 0x0
	v_xor_b32_e32 v1, v1, v0
	s_delay_alu instid0(VALU_DEP_1) | instskip(NEXT) | instid1(VALU_DEP_1)
	v_and_b32_e32 v1, 0xff0000, v1
	v_cmp_eq_u32_e32 vcc_lo, 0, v1
	s_cbranch_vccnz .LBB5_11
; %bb.10:                               ;   in Loop: Header=BB5_8 Depth=1
	s_barrier_signal -1
	s_barrier_wait -1
	ds_load_b32 v0, v0
.LBB5_11:                               ;   in Loop: Header=BB5_8 Depth=1
	s_wait_dscnt 0x0
	v_lshrrev_b32_e32 v0, 11, v0
	s_mov_b32 s46, exec_lo
	s_delay_alu instid0(VALU_DEP_1) | instskip(NEXT) | instid1(VALU_DEP_1)
	v_and_b32_e32 v1, 0x1fe0, v0
	v_cmpx_lt_u32_e64 v40, v1
	s_cbranch_execz .LBB5_7
; %bb.12:                               ;   in Loop: Header=BB5_8 Depth=1
	s_mov_b64 s[0:1], src_shared_base
	s_delay_alu instid0(SALU_CYCLE_1)
	v_dual_mov_b32 v0, v40 :: v_dual_mov_b32 v3, s1
	s_mov_b64 s[8:9], s[40:41]
	s_mov_b32 s12, s42
	s_swap_pc_i64 s[30:31], s[44:45]
	s_branch .LBB5_7
.LBB5_13:
	scratch_load_b32 v40, off, s33          ; 4-byte Folded Reload
	v_readlane_b32 s30, v41, 0
	v_readlane_b32 s31, v41, 1
	s_mov_b32 s32, s33
	s_wait_xcnt 0x0
	s_or_saveexec_b32 s0, -1
	scratch_load_b32 v41, off, s33 offset:4 ; 4-byte Folded Reload
	s_wait_xcnt 0x0
	s_mov_b32 exec_lo, s0
	s_mov_b32 s33, s47
	s_wait_loadcnt 0x0
	s_set_pc_i64 s[30:31]
.Lfunc_end5:
	.size	_Z53ncclDevFunc_ReduceScatter_RING_LL_MinMax_f8e4m3_0_0_4v, .Lfunc_end5-_Z53ncclDevFunc_ReduceScatter_RING_LL_MinMax_f8e4m3_0_0_4v
                                        ; -- End function
	.set .L_Z53ncclDevFunc_ReduceScatter_RING_LL_MinMax_f8e4m3_0_0_4v.num_vgpr, max(42, .L_ZN12_GLOBAL__N_17runRingI14__hip_fp8_e4m310FuncMinMaxIS1_E7ProtoLLLi0ELi4ELi0EEEviiP15ncclDevWorkColl.num_vgpr)
	.set .L_Z53ncclDevFunc_ReduceScatter_RING_LL_MinMax_f8e4m3_0_0_4v.num_agpr, max(0, .L_ZN12_GLOBAL__N_17runRingI14__hip_fp8_e4m310FuncMinMaxIS1_E7ProtoLLLi0ELi4ELi0EEEviiP15ncclDevWorkColl.num_agpr)
	.set .L_Z53ncclDevFunc_ReduceScatter_RING_LL_MinMax_f8e4m3_0_0_4v.numbered_sgpr, max(48, .L_ZN12_GLOBAL__N_17runRingI14__hip_fp8_e4m310FuncMinMaxIS1_E7ProtoLLLi0ELi4ELi0EEEviiP15ncclDevWorkColl.numbered_sgpr)
	.set .L_Z53ncclDevFunc_ReduceScatter_RING_LL_MinMax_f8e4m3_0_0_4v.num_named_barrier, max(0, .L_ZN12_GLOBAL__N_17runRingI14__hip_fp8_e4m310FuncMinMaxIS1_E7ProtoLLLi0ELi4ELi0EEEviiP15ncclDevWorkColl.num_named_barrier)
	.set .L_Z53ncclDevFunc_ReduceScatter_RING_LL_MinMax_f8e4m3_0_0_4v.private_seg_size, 16+max(.L_ZN12_GLOBAL__N_17runRingI14__hip_fp8_e4m310FuncMinMaxIS1_E7ProtoLLLi0ELi4ELi0EEEviiP15ncclDevWorkColl.private_seg_size)
	.set .L_Z53ncclDevFunc_ReduceScatter_RING_LL_MinMax_f8e4m3_0_0_4v.uses_vcc, or(1, .L_ZN12_GLOBAL__N_17runRingI14__hip_fp8_e4m310FuncMinMaxIS1_E7ProtoLLLi0ELi4ELi0EEEviiP15ncclDevWorkColl.uses_vcc)
	.set .L_Z53ncclDevFunc_ReduceScatter_RING_LL_MinMax_f8e4m3_0_0_4v.uses_flat_scratch, or(0, .L_ZN12_GLOBAL__N_17runRingI14__hip_fp8_e4m310FuncMinMaxIS1_E7ProtoLLLi0ELi4ELi0EEEviiP15ncclDevWorkColl.uses_flat_scratch)
	.set .L_Z53ncclDevFunc_ReduceScatter_RING_LL_MinMax_f8e4m3_0_0_4v.has_dyn_sized_stack, or(0, .L_ZN12_GLOBAL__N_17runRingI14__hip_fp8_e4m310FuncMinMaxIS1_E7ProtoLLLi0ELi4ELi0EEEviiP15ncclDevWorkColl.has_dyn_sized_stack)
	.set .L_Z53ncclDevFunc_ReduceScatter_RING_LL_MinMax_f8e4m3_0_0_4v.has_recursion, or(1, .L_ZN12_GLOBAL__N_17runRingI14__hip_fp8_e4m310FuncMinMaxIS1_E7ProtoLLLi0ELi4ELi0EEEviiP15ncclDevWorkColl.has_recursion)
	.set .L_Z53ncclDevFunc_ReduceScatter_RING_LL_MinMax_f8e4m3_0_0_4v.has_indirect_call, or(0, .L_ZN12_GLOBAL__N_17runRingI14__hip_fp8_e4m310FuncMinMaxIS1_E7ProtoLLLi0ELi4ELi0EEEviiP15ncclDevWorkColl.has_indirect_call)
	.section	.AMDGPU.csdata,"",@progbits
; Function info:
; codeLenInByte = 684
; TotalNumSgprs: 50
; NumVgprs: 120
; ScratchSize: 108
; MemoryBound: 0
	.text
	.p2alignl 7, 3214868480
	.fill 96, 4, 3214868480
	.section	.AMDGPU.gpr_maximums,"",@progbits
	.set amdgpu.max_num_vgpr, 120
	.set amdgpu.max_num_agpr, 0
	.set amdgpu.max_num_sgpr, 48
	.text
	.type	__hip_cuid_e0404fc0d9a0d696,@object ; @__hip_cuid_e0404fc0d9a0d696
	.section	.bss,"aw",@nobits
	.globl	__hip_cuid_e0404fc0d9a0d696
__hip_cuid_e0404fc0d9a0d696:
	.byte	0                               ; 0x0
	.size	__hip_cuid_e0404fc0d9a0d696, 1

	.ident	"AMD clang version 22.0.0git (https://github.com/RadeonOpenCompute/llvm-project roc-7.2.4 26084 f58b06dce1f9c15707c5f808fd002e18c2accf7e)"
	.section	".note.GNU-stack","",@progbits
	.addrsig
	.addrsig_sym _Z53ncclDevFunc_ReduceScatter_RING_LL_MinMax_f8e4m3_0_0_1v
	.addrsig_sym _Z53ncclDevFunc_ReduceScatter_RING_LL_MinMax_f8e4m3_0_0_2v
	.addrsig_sym _Z53ncclDevFunc_ReduceScatter_RING_LL_MinMax_f8e4m3_0_0_4v
	.addrsig_sym ncclShmem
	.addrsig_sym __hip_cuid_e0404fc0d9a0d696
	.amdgpu_metadata
---
amdhsa.kernels:  []
amdhsa.target:   amdgcn-amd-amdhsa--gfx1250
amdhsa.version:
  - 1
  - 2
...

	.end_amdgpu_metadata
